;; amdgpu-corpus repo=ROCm/aiter kind=harvested arch=n/a opt=n/a

/root/src/amdgpu-assembly/repos/ROCm__aiter/hsa/gfx942/fmoe/gelu/fmoe_fp8_g1u1_subGU_256_gelu.co:	file format elf64-amdgpu

Disassembly of section .text:

0000000000002b00 <fmoe_fp8_g1u1_subGU_256_gelu>:
	s_and_b32 s1, s1, 0xffff                                   // 000000002B00: 8601FF01 0000FFFF
	s_load_dwordx2 s[8:9], s[0:1], 0x0                         // 000000002B08: C0060200 00000000
	s_load_dwordx2 s[20:21], s[0:1], 0x10                      // 000000002B10: C0060500 00000010
	s_load_dwordx2 s[24:25], s[0:1], 0x20                      // 000000002B18: C0060600 00000020
	s_load_dwordx2 s[50:51], s[0:1], 0x30                      // 000000002B20: C0060C80 00000030
	s_load_dwordx2 s[12:13], s[0:1], 0x40                      // 000000002B28: C0060300 00000040
	s_load_dwordx2 s[28:29], s[0:1], 0x50                      // 000000002B30: C0060700 00000050
	s_load_dwordx2 s[32:33], s[0:1], 0x60                      // 000000002B38: C0060800 00000060
	s_load_dwordx2 s[16:17], s[0:1], 0x70                      // 000000002B40: C0060400 00000070
	s_load_dwordx2 s[36:37], s[0:1], 0x80                      // 000000002B48: C0060900 00000080
	s_load_dwordx2 s[44:45], s[0:1], 0x90                      // 000000002B50: C0060B00 00000090
	s_load_dwordx2 s[40:41], s[0:1], 0xa0                      // 000000002B58: C0060A00 000000A0
	s_load_dwordx2 s[46:47], s[0:1], 0xb0                      // 000000002B60: C0060B80 000000B0
	s_load_dword s64, s[0:1], 0xc0                             // 000000002B68: C0021000 000000C0
	s_load_dword s65, s[0:1], 0xd0                             // 000000002B70: C0021040 000000D0
	s_load_dword s66, s[0:1], 0xe0                             // 000000002B78: C0021080 000000E0
	s_load_dword s67, s[0:1], 0xf0                             // 000000002B80: C00210C0 000000F0
	s_load_dword s68, s[0:1], 0x100                            // 000000002B88: C0021100 00000100
	s_load_dword s69, s[0:1], 0x110                            // 000000002B90: C0021140 00000110
	s_load_dword s70, s[0:1], 0x120                            // 000000002B98: C0021180 00000120
	s_load_dword s71, s[0:1], 0x130                            // 000000002BA0: C00211C0 00000130
	s_load_dword s72, s[0:1], 0x140                            // 000000002BA8: C0021200 00000140
	s_load_dword s73, s[0:1], 0x150                            // 000000002BB0: C0021240 00000150
	s_load_dword s74, s[0:1], 0x160                            // 000000002BB8: C0021280 00000160
	s_load_dword s75, s[0:1], 0x170                            // 000000002BC0: C00212C0 00000170
	s_load_dword s76, s[0:1], 0x180                            // 000000002BC8: C0021300 00000180
	v_lshrrev_b32_e32 v1, 10, v0                               // 000000002BD0: 2002008A
	v_lshrrev_b32_e32 v2, 10, v1                               // 000000002BD4: 2004028A
	v_and_b32_e32 v2, 0x3ff, v2                                // 000000002BD8: 260404FF 000003FF
	v_and_b32_e32 v1, 0x3ff, v1                                // 000000002BE0: 260202FF 000003FF
	v_and_b32_e32 v0, 0x3ff, v0                                // 000000002BE8: 260000FF 000003FF
	v_lshrrev_b32_e32 v3, 6, v0                                // 000000002BF0: 20060086
	v_and_b32_e32 v0, 63, v0                                   // 000000002BF4: 260000BF
	s_mov_b32 s2, s2                                           // 000000002BF8: BE820002
	s_mov_b32 s3, s3                                           // 000000002BFC: BE830003
	s_mov_b32 s4, s4                                           // 000000002C00: BE840004
	v_readfirstlane_b32 s7, v3                                 // 000000002C04: 7E0E0503
	s_waitcnt lgkmcnt(0)                                       // 000000002C08: BF8CC07F
	s_and_b32 s51, s51, 0xffff                                 // 000000002C0C: 8633FF33 0000FFFF
	s_load_dword s50, s[50:51], 0x0                            // 000000002C14: C0020C99 00000000
	s_and_b32 s45, s45, 0xffff                                 // 000000002C1C: 862DFF2D 0000FFFF
	s_and_b32 s47, s47, 0xffff                                 // 000000002C24: 862FFF2F 0000FFFF
	s_and_b32 s9, s9, 0xffff                                   // 000000002C2C: 8609FF09 0000FFFF
	s_mul_i32 s60, s66, s68                                    // 000000002C34: 923C4442
	s_mul_i32 s61, s66, 4                                      // 000000002C38: 923D8442
	s_mov_b32 s22, s60                                         // 000000002C3C: BE96003C
	s_mov_b32 s26, 0x80000000                                  // 000000002C40: BE9A00FF 80000000
	s_mov_b32 s14, 0x80000000                                  // 000000002C48: BE8E00FF 80000000
	s_mov_b32 s42, 0x80000000                                  // 000000002C50: BEAA00FF 80000000
	s_mov_b32 s30, s61                                         // 000000002C58: BE9E003D
	s_mov_b32 s34, 0x400                                       // 000000002C5C: BEA200FF 00000400
	s_mov_b32 s38, 0x400                                       // 000000002C64: BEA600FF 00000400
	s_mov_b32 s18, 0x80000000                                  // 000000002C6C: BE9200FF 80000000
	s_mov_b32 s23, 0x20000                                     // 000000002C74: BE9700FF 00020000
	s_mov_b32 s27, 0x20000                                     // 000000002C7C: BE9B00FF 00020000
	s_mov_b32 s15, 0x20000                                     // 000000002C84: BE8F00FF 00020000
	s_mov_b32 s43, 0x20000                                     // 000000002C8C: BEAB00FF 00020000
	s_mov_b32 s31, 0x20000                                     // 000000002C94: BE9F00FF 00020000
	s_mov_b32 s35, 0x20000                                     // 000000002C9C: BEA300FF 00020000
	s_mov_b32 s39, 0x20000                                     // 000000002CA4: BEA700FF 00020000
	s_mov_b32 s19, 0x20000                                     // 000000002CAC: BE9300FF 00020000
	s_and_b32 s21, s21, 0xffff                                 // 000000002CB4: 8615FF15 0000FFFF
	s_and_b32 s25, s25, 0xffff                                 // 000000002CBC: 8619FF19 0000FFFF
	s_and_b32 s13, s13, 0xffff                                 // 000000002CC4: 860DFF0D 0000FFFF
	s_and_b32 s41, s41, 0xffff                                 // 000000002CCC: 8629FF29 0000FFFF
	s_and_b32 s29, s29, 0xffff                                 // 000000002CD4: 861DFF1D 0000FFFF
	s_and_b32 s33, s33, 0xffff                                 // 000000002CDC: 8621FF21 0000FFFF
	s_and_b32 s37, s37, 0xffff                                 // 000000002CE4: 8625FF25 0000FFFF
	s_and_b32 s17, s17, 0xffff                                 // 000000002CEC: 8611FF11 0000FFFF
	s_or_b32 s21, s21, 0x40000                                 // 000000002CF4: 8715FF15 00040000
	s_or_b32 s25, s25, 0x40000                                 // 000000002CFC: 8719FF19 00040000
	s_or_b32 s13, s13, 0x40000                                 // 000000002D04: 870DFF0D 00040000
	s_or_b32 s41, s41, 0x40000                                 // 000000002D0C: 8729FF29 00040000
	s_or_b32 s29, s29, 0x40000                                 // 000000002D14: 871DFF1D 00040000
	s_or_b32 s33, s33, 0x40000                                 // 000000002D1C: 8721FF21 00040000
	s_or_b32 s37, s37, 0x40000                                 // 000000002D24: 8725FF25 00040000
	s_or_b32 s17, s17, 0x40000                                 // 000000002D2C: 8711FF11 00040000
	v_accvgpr_write_b32 a127, 0                                // 000000002D34: D3D9407F 18000080
	v_mov_b32_e32 v223, 0                                      // 000000002D3C: 7FBE0280
	s_waitcnt lgkmcnt(0)                                       // 000000002D40: BF8CC07F
	s_mul_i32 s60, s3, 32                                      // 000000002D44: 923CA003
	s_cmp_lt_i32 s60, s50                                      // 000000002D48: BF04323C
	s_cbranch_scc0 label_19EB                                  // 000000002D4C: BF841957
	s_mov_b32 s80, 0                                           // 000000002D50: BED00080
	s_mov_b32 s81, s64                                         // 000000002D54: BED10040
	s_mul_i32 s60, s3, 4                                       // 000000002D58: 923C8403
	s_add_u32 s46, s60, s46                                    // 000000002D5C: 802E2E3C
	s_addc_u32 s47, 0, s47                                     // 000000002D60: 822F2F80
	s_load_dword s5, s[46:47], 0x0                             // 000000002D64: C0020157 00000000
	s_mul_i32 s60, s3, 32                                      // 000000002D6C: 923CA003
	s_mul_i32 s60, 4, s60                                      // 000000002D70: 923C3C84
	v_and_b32_e32 v46, 15, v0                                  // 000000002D74: 265C008F
	v_lshlrev_b32_e32 v46, 2, v46                              // 000000002D78: 245C5C82
	v_add_u32_e32 v46, s60, v46                                // 000000002D7C: 685C5C3C
	v_mov_b32_e32 v47, 0                                       // 000000002D80: 7E5E0280
	global_load_dword v6, v46, s[44:45]                        // 000000002D84: DC508000 062C002E
	v_add_u32_e32 v46, 64, v46                                 // 000000002D8C: 685C5CC0
	global_load_dword v7, v46, s[44:45]                        // 000000002D90: DC508000 072C002E
	s_mul_i32 s60, s3, 32                                      // 000000002D98: 923CA003
	s_add_u32 s60, s7, s60                                     // 000000002D9C: 803C3C07
	s_mul_i32 s60, 4, s60                                      // 000000002DA0: 923C3C84
	s_add_u32 s44, s60, s44                                    // 000000002DA4: 802C2C3C
	s_addc_u32 s45, 0, s45                                     // 000000002DA8: 822D2D80
	s_load_dword s82, s[44:45], 0x0                            // 000000002DAC: C0021496 00000000
	s_load_dword s83, s[44:45], 0x10                           // 000000002DB4: C00214D6 00000010
	s_load_dword s84, s[44:45], 0x20                           // 000000002DBC: C0021516 00000020
	s_load_dword s85, s[44:45], 0x30                           // 000000002DC4: C0021556 00000030
	s_load_dword s86, s[44:45], 0x40                           // 000000002DCC: C0021596 00000040
	s_load_dword s87, s[44:45], 0x50                           // 000000002DD4: C00215D6 00000050
	s_load_dword s88, s[44:45], 0x60                           // 000000002DDC: C0021616 00000060
	s_load_dword s89, s[44:45], 0x70                           // 000000002DE4: C0021656 00000070
	s_waitcnt lgkmcnt(0)                                       // 000000002DEC: BF8CC07F
	v_lshlrev_b32_e32 v46, 2, v0                               // 000000002DF0: 245C0082
	s_and_b32 s82, s82, 0xffffff                               // 000000002DF4: 8652FF52 00FFFFFF
	s_mul_i32 s60, s82, s68                                    // 000000002DFC: 923C4452
	v_add_u32_e64 v24, v46, s60                                // 000000002E00: D1340018 0000792E
	s_and_b32 s83, s83, 0xffffff                               // 000000002E08: 8653FF53 00FFFFFF
	s_mul_i32 s60, s83, s68                                    // 000000002E10: 923C4453
	v_add_u32_e64 v25, v46, s60                                // 000000002E14: D1340019 0000792E
	s_and_b32 s84, s84, 0xffffff                               // 000000002E1C: 8654FF54 00FFFFFF
	s_mul_i32 s60, s84, s68                                    // 000000002E24: 923C4454
	v_add_u32_e64 v26, v46, s60                                // 000000002E28: D134001A 0000792E
	s_and_b32 s85, s85, 0xffffff                               // 000000002E30: 8655FF55 00FFFFFF
	s_mul_i32 s60, s85, s68                                    // 000000002E38: 923C4455
	v_add_u32_e64 v27, v46, s60                                // 000000002E3C: D134001B 0000792E
	s_and_b32 s86, s86, 0xffffff                               // 000000002E44: 8656FF56 00FFFFFF
	s_mul_i32 s60, s86, s68                                    // 000000002E4C: 923C4456
	v_add_u32_e64 v28, v46, s60                                // 000000002E50: D134001C 0000792E
	s_and_b32 s87, s87, 0xffffff                               // 000000002E58: 8657FF57 00FFFFFF
	s_mul_i32 s60, s87, s68                                    // 000000002E60: 923C4457
	v_add_u32_e64 v29, v46, s60                                // 000000002E64: D134001D 0000792E
	s_and_b32 s88, s88, 0xffffff                               // 000000002E6C: 8658FF58 00FFFFFF
	s_mul_i32 s60, s88, s68                                    // 000000002E74: 923C4458
	v_add_u32_e64 v30, v46, s60                                // 000000002E78: D134001E 0000792E
	s_and_b32 s89, s89, 0xffffff                               // 000000002E80: 8659FF59 00FFFFFF
	s_mul_i32 s60, s89, s68                                    // 000000002E88: 923C4459
	v_add_u32_e64 v31, v46, s60                                // 000000002E8C: D134001F 0000792E
	v_lshlrev_b32_e32 v46, 2, v0                               // 000000002E94: 245C0082
	s_mul_i32 s60, s82, s71                                    // 000000002E98: 923C4752
	v_add_u32_e64 v80, v46, s60                                // 000000002E9C: D1340050 0000792E
	v_mov_b32_e32 v81, 0                                       // 000000002EA4: 7EA20280
	s_mul_i32 s60, s83, s71                                    // 000000002EA8: 923C4753
	v_add_u32_e64 v82, v46, s60                                // 000000002EAC: D1340052 0000792E
	v_mov_b32_e32 v83, 0                                       // 000000002EB4: 7EA60280
	s_mul_i32 s60, s84, s71                                    // 000000002EB8: 923C4754
	v_add_u32_e64 v84, v46, s60                                // 000000002EBC: D1340054 0000792E
	v_mov_b32_e32 v85, 0                                       // 000000002EC4: 7EAA0280
	s_mul_i32 s60, s85, s71                                    // 000000002EC8: 923C4755
	v_add_u32_e64 v86, v46, s60                                // 000000002ECC: D1340056 0000792E
	v_mov_b32_e32 v87, 0                                       // 000000002ED4: 7EAE0280
	s_mul_i32 s60, s86, s71                                    // 000000002ED8: 923C4756
	v_add_u32_e64 v88, v46, s60                                // 000000002EDC: D1340058 0000792E
	v_mov_b32_e32 v89, 0                                       // 000000002EE4: 7EB20280
	s_mul_i32 s60, s87, s71                                    // 000000002EE8: 923C4757
	v_add_u32_e64 v90, v46, s60                                // 000000002EEC: D134005A 0000792E
	v_mov_b32_e32 v91, 0                                       // 000000002EF4: 7EB60280
	s_mul_i32 s60, s88, s71                                    // 000000002EF8: 923C4758
	v_add_u32_e64 v92, v46, s60                                // 000000002EFC: D134005C 0000792E
	v_mov_b32_e32 v93, 0                                       // 000000002F04: 7EBA0280
	s_mul_i32 s60, s89, s71                                    // 000000002F08: 923C4759
	v_add_u32_e64 v94, v46, s60                                // 000000002F0C: D134005E 0000792E
	v_mov_b32_e32 v95, 0                                       // 000000002F14: 7EBE0280
	s_mul_i32 s60, s7, 0x820                                   // 000000002F18: 923CFF07 00000820
	s_add_u32 s50, 0, s60                                      // 000000002F20: 80323C80
	s_add_u32 s51, 0x2080, s50                                 // 000000002F24: 803332FF 00002080
	v_lshrrev_b32_e32 v46, 4, v0                               // 000000002F2C: 205C0084
	v_lshlrev_b32_e32 v47, 2, v46                              // 000000002F30: 245E5C82
	v_and_b32_e32 v46, 15, v0                                  // 000000002F34: 265C008F
	v_lshrrev_b32_e32 v48, 2, v46                              // 000000002F38: 20605C82
	v_lshlrev_b32_e32 v48, 6, v48                              // 000000002F3C: 24606086
	v_add_u32_e32 v47, v48, v47                                // 000000002F40: 685E5F30
	v_and_b32_e32 v46, 3, v0                                   // 000000002F44: 265C0083
	v_mul_i32_i24_e32 v48, 0x208, v46                          // 000000002F48: 0C605CFF 00000208
	v_add_u32_e32 v47, v48, v47                                // 000000002F50: 685E5F30
	v_lshlrev_b32_e32 v2, 2, v47                               // 000000002F54: 24045E82
	s_mul_i32 s60, s2, 0x100                                   // 000000002F58: 923CFF02 00000100
	s_mul_i32 s60, s60, s69                                    // 000000002F60: 923C453C
	s_mul_i32 s61, s5, s72                                     // 000000002F64: 923D4805
	s_add_u32 s60, s61, s60                                    // 000000002F68: 803C3C3D
	s_add_u32 s24, s60, s24                                    // 000000002F6C: 8018183C
	s_addc_u32 s25, 0, s25                                     // 000000002F70: 82191980
	s_mul_i32 s60, s7, 16                                      // 000000002F74: 923C9007
	s_mul_i32 s60, s60, s69                                    // 000000002F78: 923C453C
	v_lshlrev_b32_e32 v32, 4, v0                               // 000000002F7C: 24400084
	v_add_u32_e32 v32, s60, v32                                // 000000002F80: 6840403C
	s_mul_i32 s60, 64, s69                                     // 000000002F84: 923C45C0
	v_add_u32_e32 v33, s60, v32                                // 000000002F88: 6842403C
	v_add_u32_e32 v34, s60, v33                                // 000000002F8C: 6844423C
	v_add_u32_e32 v35, s60, v34                                // 000000002F90: 6846443C
	s_mov_b32 s92, s24                                         // 000000002F94: BEDC0018
	s_mov_b32 s93, s25                                         // 000000002F98: BEDD0019
	s_mov_b32 s94, s26                                         // 000000002F9C: BEDE001A
	s_mov_b32 s95, s27                                         // 000000002FA0: BEDF001B
	s_mul_i32 s60, s69, s65                                    // 000000002FA4: 923C4145
	s_add_u32 s92, s60, s92                                    // 000000002FA8: 805C5C3C
	s_addc_u32 s93, 0, s93                                     // 000000002FAC: 825D5D80
	s_mul_i32 s60, s2, 0x1000                                  // 000000002FB0: 923CFF02 00001000
	s_mul_i32 s61, s5, s73                                     // 000000002FB8: 923D4905
	s_add_u32 s60, s61, s60                                    // 000000002FBC: 803C3C3D
	s_add_u32 s12, s60, s12                                    // 000000002FC0: 800C0C3C
	s_addc_u32 s13, 0, s13                                     // 000000002FC4: 820D0D80
	s_mul_i32 s60, s7, 16                                      // 000000002FC8: 923C9007
	s_mul_i32 s60, s60, s70                                    // 000000002FCC: 923C463C
	v_lshlrev_b32_e32 v36, 4, v0                               // 000000002FD0: 24480084
	v_add_u32_e32 v36, s60, v36                                // 000000002FD4: 6848483C
	s_mul_i32 s60, 64, s70                                     // 000000002FD8: 923C46C0
	v_add_u32_e32 v37, s60, v36                                // 000000002FDC: 684A483C
	v_add_u32_e32 v38, s60, v37                                // 000000002FE0: 684C4A3C
	v_add_u32_e32 v39, s60, v38                                // 000000002FE4: 684E4C3C
	s_mul_i32 s60, s70, 0x100                                  // 000000002FE8: 923CFF46 00000100
	s_mov_b32 s78, 0x400                                       // 000000002FF0: BECE00FF 00000400
	s_mul_i32 s61, s78, 3                                      // 000000002FF8: 923D834E
	s_sub_u32 s56, s60, s61                                    // 000000002FFC: 80B83D3C
	s_mul_i32 s60, s3, 32                                      // 000000003000: 923CA003
	s_mul_i32 s60, 4, s60                                      // 000000003004: 923C3C84
	s_add_u32 s40, s60, s40                                    // 000000003008: 8028283C
	s_addc_u32 s41, 0, s41                                     // 00000000300C: 82292980
	v_and_b32_e32 v46, 15, v0                                  // 000000003010: 265C008F
	v_lshlrev_b32_e32 v8, 2, v46                               // 000000003014: 24105C82
	v_add_u32_e32 v9, 64, v8                                   // 000000003018: 681210C0
	v_lshrrev_b32_e32 v46, 4, v0                               // 00000000301C: 205C0084
	v_lshlrev_b32_e32 v47, 2, v46                              // 000000003020: 245E5C82
	v_and_b32_e32 v46, 15, v0                                  // 000000003024: 265C008F
	v_lshrrev_b32_e32 v48, 2, v46                              // 000000003028: 20605C82
	v_lshlrev_b32_e32 v48, 6, v48                              // 00000000302C: 24606086
	v_add_u32_e32 v47, v48, v47                                // 000000003030: 685E5F30
	v_and_b32_e32 v46, 3, v0                                   // 000000003034: 265C0083
	v_add_u32_e32 v47, v46, v47                                // 000000003038: 685E5F2E
	v_lshlrev_b32_e32 v10, 2, v47                              // 00000000303C: 24145E82
	v_add_u32_e32 v11, 0x400, v10                              // 000000003040: 681614FF 00000400
	s_mul_i32 s60, s7, 16                                      // 000000003048: 923C9007
	s_mul_i32 s60, s60, 4                                      // 00000000304C: 923C843C
	v_add_u32_e32 v10, s60, v10                                // 000000003050: 6814143C
	v_add_u32_e32 v11, s60, v11                                // 000000003054: 6816163C
	v_mov_b32_e32 v5, v10                                      // 000000003058: 7E0A030A
	s_mul_i32 s60, s2, 0x100                                   // 00000000305C: 923CFF02 00000100
	s_mul_i32 s60, s60, 4                                      // 000000003064: 923C843C
	s_mul_i32 s61, s5, s74                                     // 000000003068: 923D4A05
	s_add_u32 s61, s61, s60                                    // 00000000306C: 803D3C3D
	s_mul_i32 s62, s5, s76                                     // 000000003070: 923E4C05
	s_add_u32 s62, s62, s60                                    // 000000003074: 803E3C3E
	s_add_u32 s32, s61, s32                                    // 000000003078: 8020203D
	s_addc_u32 s33, 0, s33                                     // 00000000307C: 82212180
	s_add_u32 s36, s62, s36                                    // 000000003080: 8024243E
	s_addc_u32 s37, 0, s37                                     // 000000003084: 82252580
	s_mul_i32 s60, s5, s75                                     // 000000003088: 923C4B05
	s_add_u32 s16, s60, s16                                    // 00000000308C: 8010103C
	s_addc_u32 s17, 0, s17                                     // 000000003090: 82111180
	s_mov_b32 s57, 0x100                                       // 000000003094: BEB900FF 00000100
	s_mov_b32 s58, 0x1000                                      // 00000000309C: BEBA00FF 00001000
	s_mov_b32 s79, 0x400                                       // 0000000030A4: BECF00FF 00000400
	s_mov_b32 s59, 0x200                                       // 0000000030AC: BEBB00FF 00000200
	s_mov_b32 s90, s58                                         // 0000000030B4: BEDA003A
	s_mov_b32 s52, 0x7060302                                   // 0000000030B8: BEB400FF 07060302
	s_mov_b32 s53, 0x400                                       // 0000000030C0: BEB500FF 00000400
	s_mov_b32 s54, 0x40100                                     // 0000000030C8: BEB600FF 00040100
	s_mov_b32 s55, 0x4020100                                   // 0000000030D0: BEB700FF 04020100
	s_mov_b32 s6, 0x3fb8aa3b                                   // 0000000030D8: BE8600FF 3FB8AA3B
	s_mov_b32 s77, 0xbd92220c                                  // 0000000030E0: BECD00FF BD92220C
	s_mov_b32 m0, s50                                          // 0000000030E8: BEFC0032
	v_mov_b32_e32 v1, 0xbfcc4231                               // 0000000030EC: 7E0202FF BFCC4231
	v_mov_b32_e32 v41, 0xffff0000                              // 0000000030F4: 7E5202FF FFFF0000
	v_mov_b32_e32 v42, 0x7fff0000                              // 0000000030FC: 7E5402FF 7FFF0000
	v_mov_b32_e32 v43, 0x7fff                                  // 000000003104: 7E5602FF 00007FFF
	s_waitcnt vmcnt(0) expcnt(0) lgkmcnt(0)                    // 00000000310C: BF8C0000
	v_and_b32_e32 v6, 0xffffff, v6                             // 000000003110: 260C0CFF 00FFFFFF
	v_and_b32_e32 v7, 0xffffff, v7                             // 000000003118: 260E0EFF 00FFFFFF
	v_lshlrev_b32_e32 v6, 2, v6                                // 000000003120: 240C0C82
	v_lshlrev_b32_e32 v7, 2, v7                                // 000000003124: 240E0E82
	buffer_load_dword v13, v6, s[28:31], 0 offen               // 000000003128: E0501000 80070D06
	buffer_load_dword v14, v7, s[28:31], 0 offen               // 000000003130: E0501000 80070E07
	buffer_load_dword v15, v10, s[32:35], 0 offen              // 000000003138: E0501000 80080F0A
	buffer_load_dword v16, v11, s[32:35], 0 offen              // 000000003140: E0501000 8008100B
	s_mul_i32 s60, 4, s65                                      // 000000003148: 923C4184
	s_add_u32 s32, s60, s32                                    // 00000000314C: 8020203C
	s_addc_u32 s33, 0, s33                                     // 000000003150: 82212180
	buffer_load_dword v44, v10, s[32:35], 0 offen              // 000000003154: E0501000 80082C0A
	buffer_load_dword v45, v11, s[32:35], 0 offen              // 00000000315C: E0501000 80082D0B
	buffer_load_dword v17, v8, s[40:43], 0 offen               // 000000003164: E0501000 800A1108
	buffer_load_dword v18, v9, s[40:43], 0 offen               // 00000000316C: E0501000 800A1209
	buffer_load_dword v24, s[20:23], 0 offen lds               // 000000003174: E0511000 80050018
	s_add_u32 m0, 0x100, s50                                   // 00000000317C: 807C32FF 00000100
	buffer_load_dword v25, s[20:23], 0 offen lds               // 000000003184: E0511000 80050019
	s_add_u32 m0, 0x200, s50                                   // 00000000318C: 807C32FF 00000200
	buffer_load_dword v26, s[20:23], 0 offen lds               // 000000003194: E0511000 8005001A
	s_add_u32 m0, 0x300, s50                                   // 00000000319C: 807C32FF 00000300
	buffer_load_dword v27, s[20:23], 0 offen lds               // 0000000031A4: E0511000 8005001B
	s_add_u32 m0, 0x400, s50                                   // 0000000031AC: 807C32FF 00000400
	buffer_load_dword v28, s[20:23], 0 offen lds               // 0000000031B4: E0511000 8005001C
	s_add_u32 m0, 0x500, s50                                   // 0000000031BC: 807C32FF 00000500
	buffer_load_dword v29, s[20:23], 0 offen lds               // 0000000031C4: E0511000 8005001D
	s_add_u32 m0, 0x600, s50                                   // 0000000031CC: 807C32FF 00000600
	buffer_load_dword v30, s[20:23], 0 offen lds               // 0000000031D4: E0511000 8005001E
	s_add_u32 m0, 0x700, s50                                   // 0000000031DC: 807C32FF 00000700
	buffer_load_dword v31, s[20:23], 0 offen lds               // 0000000031E4: E0511000 8005001F
	s_add_u32 m0, 0, s51                                       // 0000000031EC: 807C3380
	s_add_u32 s20, s57, s20                                    // 0000000031F0: 80141439
	s_addc_u32 s21, 0, s21                                     // 0000000031F4: 82151580
	buffer_load_dwordx4 a[0:3], v32, s[24:27], 0 offen         // 0000000031F8: E05C1000 80860020
	buffer_load_dwordx4 a[4:7], v32, s[24:27], 0 offen offset:1024// 000000003200: E05C1400 80860420
	buffer_load_dwordx4 a[8:11], v32, s[24:27], 0 offen offset:2048// 000000003208: E05C1800 80860820
	buffer_load_dwordx4 a[12:15], v32, s[24:27], 0 offen offset:3072// 000000003210: E05C1C00 80860C20
	buffer_load_dwordx4 a[16:19], v33, s[24:27], 0 offen       // 000000003218: E05C1000 80861021
	buffer_load_dwordx4 a[20:23], v33, s[24:27], 0 offen offset:1024// 000000003220: E05C1400 80861421
	buffer_load_dwordx4 a[24:27], v33, s[24:27], 0 offen offset:2048// 000000003228: E05C1800 80861821
	buffer_load_dwordx4 a[28:31], v33, s[24:27], 0 offen offset:3072// 000000003230: E05C1C00 80861C21
	buffer_load_dwordx4 a[32:35], v34, s[24:27], 0 offen       // 000000003238: E05C1000 80862022
	buffer_load_dwordx4 a[36:39], v34, s[24:27], 0 offen offset:1024// 000000003240: E05C1400 80862422
	buffer_load_dwordx4 a[40:43], v34, s[24:27], 0 offen offset:2048// 000000003248: E05C1800 80862822
	buffer_load_dwordx4 a[44:47], v34, s[24:27], 0 offen offset:3072// 000000003250: E05C1C00 80862C22
	buffer_load_dwordx4 a[48:51], v35, s[24:27], 0 offen       // 000000003258: E05C1000 80863023
	buffer_load_dwordx4 a[52:55], v35, s[24:27], 0 offen offset:1024// 000000003260: E05C1400 80863423
	buffer_load_dwordx4 a[56:59], v35, s[24:27], 0 offen offset:2048// 000000003268: E05C1800 80863823
	buffer_load_dwordx4 a[60:63], v35, s[24:27], 0 offen offset:3072// 000000003270: E05C1C00 80863C23
	s_add_u32 s24, s58, s24                                    // 000000003278: 8018183A
	s_addc_u32 s25, 0, s25                                     // 00000000327C: 82191980
	v_mov_b32_e32 v128, 0                                      // 000000003280: 7F000280
	v_mov_b32_e32 v64, 0                                       // 000000003284: 7E800280
	v_mov_b32_e32 v129, 0                                      // 000000003288: 7F020280
	v_mov_b32_e32 v65, 0                                       // 00000000328C: 7E820280
	v_mov_b32_e32 v130, 0                                      // 000000003290: 7F040280
	v_mov_b32_e32 v66, 0                                       // 000000003294: 7E840280
	v_mov_b32_e32 v131, 0                                      // 000000003298: 7F060280
	v_mov_b32_e32 v67, 0                                       // 00000000329C: 7E860280
	v_mov_b32_e32 v132, 0                                      // 0000000032A0: 7F080280
	v_mov_b32_e32 v68, 0                                       // 0000000032A4: 7E880280
	v_mov_b32_e32 v133, 0                                      // 0000000032A8: 7F0A0280
	v_mov_b32_e32 v69, 0                                       // 0000000032AC: 7E8A0280
	v_mov_b32_e32 v134, 0                                      // 0000000032B0: 7F0C0280
	v_mov_b32_e32 v70, 0                                       // 0000000032B4: 7E8C0280
	v_mov_b32_e32 v135, 0                                      // 0000000032B8: 7F0E0280
	v_mov_b32_e32 v71, 0                                       // 0000000032BC: 7E8E0280
	v_mov_b32_e32 v136, 0                                      // 0000000032C0: 7F100280
	v_mov_b32_e32 v72, 0                                       // 0000000032C4: 7E900280
	v_mov_b32_e32 v137, 0                                      // 0000000032C8: 7F120280
	v_mov_b32_e32 v73, 0                                       // 0000000032CC: 7E920280
	v_mov_b32_e32 v138, 0                                      // 0000000032D0: 7F140280
	v_mov_b32_e32 v74, 0                                       // 0000000032D4: 7E940280
	v_mov_b32_e32 v139, 0                                      // 0000000032D8: 7F160280
	v_mov_b32_e32 v75, 0                                       // 0000000032DC: 7E960280
	v_mov_b32_e32 v140, 0                                      // 0000000032E0: 7F180280
	v_mov_b32_e32 v76, 0                                       // 0000000032E4: 7E980280
	v_mov_b32_e32 v141, 0                                      // 0000000032E8: 7F1A0280
	v_mov_b32_e32 v77, 0                                       // 0000000032EC: 7E9A0280
	v_mov_b32_e32 v142, 0                                      // 0000000032F0: 7F1C0280
	v_mov_b32_e32 v78, 0                                       // 0000000032F4: 7E9C0280
	v_mov_b32_e32 v143, 0                                      // 0000000032F8: 7F1E0280
	v_mov_b32_e32 v79, 0                                       // 0000000032FC: 7E9E0280
	v_mov_b32_e32 v144, 0                                      // 000000003300: 7F200280
	v_mov_b32_e32 v80, 0                                       // 000000003304: 7EA00280
	v_mov_b32_e32 v145, 0                                      // 000000003308: 7F220280
	v_mov_b32_e32 v81, 0                                       // 00000000330C: 7EA20280
	v_mov_b32_e32 v146, 0                                      // 000000003310: 7F240280
	v_mov_b32_e32 v82, 0                                       // 000000003314: 7EA40280
	v_mov_b32_e32 v147, 0                                      // 000000003318: 7F260280
	v_mov_b32_e32 v83, 0                                       // 00000000331C: 7EA60280
	v_mov_b32_e32 v148, 0                                      // 000000003320: 7F280280
	v_mov_b32_e32 v84, 0                                       // 000000003324: 7EA80280
	v_mov_b32_e32 v149, 0                                      // 000000003328: 7F2A0280
	v_mov_b32_e32 v85, 0                                       // 00000000332C: 7EAA0280
	v_mov_b32_e32 v150, 0                                      // 000000003330: 7F2C0280
	v_mov_b32_e32 v86, 0                                       // 000000003334: 7EAC0280
	v_mov_b32_e32 v151, 0                                      // 000000003338: 7F2E0280
	v_mov_b32_e32 v87, 0                                       // 00000000333C: 7EAE0280
	v_mov_b32_e32 v152, 0                                      // 000000003340: 7F300280
	v_mov_b32_e32 v88, 0                                       // 000000003344: 7EB00280
	v_mov_b32_e32 v153, 0                                      // 000000003348: 7F320280
	v_mov_b32_e32 v89, 0                                       // 00000000334C: 7EB20280
	v_mov_b32_e32 v154, 0                                      // 000000003350: 7F340280
	v_mov_b32_e32 v90, 0                                       // 000000003354: 7EB40280
	v_mov_b32_e32 v155, 0                                      // 000000003358: 7F360280
	v_mov_b32_e32 v91, 0                                       // 00000000335C: 7EB60280
	v_mov_b32_e32 v156, 0                                      // 000000003360: 7F380280
	v_mov_b32_e32 v92, 0                                       // 000000003364: 7EB80280
	v_mov_b32_e32 v157, 0                                      // 000000003368: 7F3A0280
	v_mov_b32_e32 v93, 0                                       // 00000000336C: 7EBA0280
	v_mov_b32_e32 v158, 0                                      // 000000003370: 7F3C0280
	v_mov_b32_e32 v94, 0                                       // 000000003374: 7EBC0280
	v_mov_b32_e32 v159, 0                                      // 000000003378: 7F3E0280
	v_mov_b32_e32 v95, 0                                       // 00000000337C: 7EBE0280
	v_lshrrev_b32_e32 v46, 4, v0                               // 000000003380: 205C0084
	v_mul_i32_i24_e32 v3, 34, v46                              // 000000003384: 0C065CA2
	v_and_b32_e32 v46, 15, v0                                  // 000000003388: 265C008F
	v_mul_i32_i24_e32 v47, 2, v46                              // 00000000338C: 0C5E5C82
	v_add_u32_e32 v3, v47, v3                                  // 000000003390: 6806072F
	s_mul_i32 s60, s7, 0x88                                    // 000000003394: 923CFF07 00000088
	v_add_u32_e32 v3, s60, v3                                  // 00000000339C: 6806063C
	v_lshlrev_b32_e32 v3, 2, v3                                // 0000000033A0: 24060682
	v_lshrrev_b32_e32 v46, 1, v0                               // 0000000033A4: 205C0081
	v_mul_i32_i24_e32 v4, 34, v46                              // 0000000033A8: 0C085CA2
	v_and_b32_e32 v47, 1, v0                                   // 0000000033AC: 265E0081
	v_add_u32_e32 v4, v47, v4                                  // 0000000033B0: 6808092F
	s_mul_i32 s60, s7, 2                                       // 0000000033B4: 923C8207
	v_add_u32_e32 v4, s60, v4                                  // 0000000033B8: 6808083C
	v_lshlrev_b32_e32 v4, 2, v4                                // 0000000033BC: 24080882
	s_waitcnt vmcnt(16)                                        // 0000000033C0: BF8C4F70
	s_barrier                                                  // 0000000033C4: BF8A0000
	ds_read_b128 v[160:163], v2                                // 0000000033C8: D9FE0000 A0000002
	ds_read_b128 v[164:167], v2 offset:64                      // 0000000033D0: D9FE0040 A4000002
	ds_read_b128 v[168:171], v2 offset:128                     // 0000000033D8: D9FE0080 A8000002
	ds_read_b128 v[172:175], v2 offset:192                     // 0000000033E0: D9FE00C0 AC000002
	ds_read_b128 v[176:179], v2 offset:1024                    // 0000000033E8: D9FE0400 B0000002
	ds_read_b128 v[180:183], v2 offset:1088                    // 0000000033F0: D9FE0440 B4000002
	ds_read_b128 v[184:187], v2 offset:1152                    // 0000000033F8: D9FE0480 B8000002
	ds_read_b128 v[188:191], v2 offset:1216                    // 000000003400: D9FE04C0 BC000002
	s_cmp_lt_i32 s7, 2                                         // 000000003408: BF048207
	s_cbranch_scc0 label_0E19                                  // 00000000340C: BF840BD5

0000000000003410 <label_0244>:
	s_waitcnt vmcnt(8) lgkmcnt(0)                              // 000000003410: BF8C0078
	s_barrier                                                  // 000000003414: BF8A0000
	v_mfma_f32_16x16x32_fp8_fp8 v[128:131], a[0:1], v[160:161], v[128:131]// 000000003418: D3F30080 0E034100
	v_mfma_f32_16x16x32_fp8_fp8 v[128:131], a[2:3], v[162:163], v[128:131]// 000000003420: D3F30080 0E034502
	buffer_load_dwordx4 a[64:67], v32, s[92:95], 0 offen       // 000000003428: E05C1000 80974020
	v_mfma_f32_16x16x32_fp8_fp8 v[128:131], a[4:5], v[164:165], v[128:131]// 000000003430: D3F30080 0E034904
	v_mfma_f32_16x16x32_fp8_fp8 v[128:131], a[6:7], v[166:167], v[128:131]// 000000003438: D3F30080 0E034D06
	buffer_load_dword v24, s[20:23], 0 offen lds               // 000000003440: E0511000 80050018
	s_add_u32 m0, 0x100, s51                                   // 000000003448: 807C33FF 00000100
	v_mfma_f32_16x16x32_fp8_fp8 v[128:131], a[8:9], v[168:169], v[128:131]// 000000003450: D3F30080 0E035108
	v_mfma_f32_16x16x32_fp8_fp8 v[128:131], a[10:11], v[170:171], v[128:131]// 000000003458: D3F30080 0E03550A
	buffer_load_dwordx4 a[68:71], v32, s[92:95], 0 offen offset:1024// 000000003460: E05C1400 80974420
	v_mfma_f32_16x16x32_fp8_fp8 v[128:131], a[12:13], v[172:173], v[128:131]// 000000003468: D3F30080 0E03590C
	v_mfma_f32_16x16x32_fp8_fp8 v[128:131], a[14:15], v[174:175], v[128:131]// 000000003470: D3F30080 0E035D0E
	buffer_load_dword v25, s[20:23], 0 offen lds               // 000000003478: E0511000 80050019
	s_add_u32 m0, 0x200, s51                                   // 000000003480: 807C33FF 00000200
	v_mfma_f32_16x16x32_fp8_fp8 v[132:135], a[0:1], v[176:177], v[132:135]// 000000003488: D3F30084 0E136100
	v_mfma_f32_16x16x32_fp8_fp8 v[132:135], a[2:3], v[178:179], v[132:135]// 000000003490: D3F30084 0E136502
	buffer_load_dwordx4 a[72:75], v32, s[92:95], 0 offen offset:2048// 000000003498: E05C1800 80974820
	v_mfma_f32_16x16x32_fp8_fp8 v[132:135], a[4:5], v[180:181], v[132:135]// 0000000034A0: D3F30084 0E136904
	v_mfma_f32_16x16x32_fp8_fp8 v[132:135], a[6:7], v[182:183], v[132:135]// 0000000034A8: D3F30084 0E136D06
	buffer_load_dword v26, s[20:23], 0 offen lds               // 0000000034B0: E0511000 8005001A
	s_add_u32 m0, 0x300, s51                                   // 0000000034B8: 807C33FF 00000300
	v_mfma_f32_16x16x32_fp8_fp8 v[132:135], a[8:9], v[184:185], v[132:135]// 0000000034C0: D3F30084 0E137108
	v_mfma_f32_16x16x32_fp8_fp8 v[132:135], a[10:11], v[186:187], v[132:135]// 0000000034C8: D3F30084 0E13750A
	buffer_load_dwordx4 a[76:79], v32, s[92:95], 0 offen offset:3072// 0000000034D0: E05C1C00 80974C20
	v_mfma_f32_16x16x32_fp8_fp8 v[132:135], a[12:13], v[188:189], v[132:135]// 0000000034D8: D3F30084 0E13790C
	v_mfma_f32_16x16x32_fp8_fp8 v[132:135], a[14:15], v[190:191], v[132:135]// 0000000034E0: D3F30084 0E137D0E
	buffer_load_dword v27, s[20:23], 0 offen lds               // 0000000034E8: E0511000 8005001B
	s_add_u32 m0, 0x400, s51                                   // 0000000034F0: 807C33FF 00000400
	v_mfma_f32_16x16x32_fp8_fp8 v[136:139], a[16:17], v[160:161], v[136:139]// 0000000034F8: D3F30088 0E234110
	v_mfma_f32_16x16x32_fp8_fp8 v[136:139], a[18:19], v[162:163], v[136:139]// 000000003500: D3F30088 0E234512
	buffer_load_dwordx4 a[80:83], v33, s[92:95], 0 offen       // 000000003508: E05C1000 80975021
	v_mfma_f32_16x16x32_fp8_fp8 v[136:139], a[20:21], v[164:165], v[136:139]// 000000003510: D3F30088 0E234914
	v_mfma_f32_16x16x32_fp8_fp8 v[136:139], a[22:23], v[166:167], v[136:139]// 000000003518: D3F30088 0E234D16
	buffer_load_dword v28, s[20:23], 0 offen lds               // 000000003520: E0511000 8005001C
	s_add_u32 m0, 0x500, s51                                   // 000000003528: 807C33FF 00000500
	v_mfma_f32_16x16x32_fp8_fp8 v[136:139], a[24:25], v[168:169], v[136:139]// 000000003530: D3F30088 0E235118
	v_mfma_f32_16x16x32_fp8_fp8 v[136:139], a[26:27], v[170:171], v[136:139]// 000000003538: D3F30088 0E23551A
	buffer_load_dwordx4 a[84:87], v33, s[92:95], 0 offen offset:1024// 000000003540: E05C1400 80975421
	v_mfma_f32_16x16x32_fp8_fp8 v[136:139], a[28:29], v[172:173], v[136:139]// 000000003548: D3F30088 0E23591C
	v_mfma_f32_16x16x32_fp8_fp8 v[136:139], a[30:31], v[174:175], v[136:139]// 000000003550: D3F30088 0E235D1E
	buffer_load_dword v29, s[20:23], 0 offen lds               // 000000003558: E0511000 8005001D
	s_add_u32 m0, 0x600, s51                                   // 000000003560: 807C33FF 00000600
	v_mfma_f32_16x16x32_fp8_fp8 v[140:143], a[16:17], v[176:177], v[140:143]// 000000003568: D3F3008C 0E336110
	v_mfma_f32_16x16x32_fp8_fp8 v[140:143], a[18:19], v[178:179], v[140:143]// 000000003570: D3F3008C 0E336512
	buffer_load_dwordx4 a[88:91], v33, s[92:95], 0 offen offset:2048// 000000003578: E05C1800 80975821
	v_mfma_f32_16x16x32_fp8_fp8 v[140:143], a[20:21], v[180:181], v[140:143]// 000000003580: D3F3008C 0E336914
	v_mfma_f32_16x16x32_fp8_fp8 v[140:143], a[22:23], v[182:183], v[140:143]// 000000003588: D3F3008C 0E336D16
	buffer_load_dword v30, s[20:23], 0 offen lds               // 000000003590: E0511000 8005001E
	s_add_u32 m0, 0x700, s51                                   // 000000003598: 807C33FF 00000700
	v_mfma_f32_16x16x32_fp8_fp8 v[140:143], a[24:25], v[184:185], v[140:143]// 0000000035A0: D3F3008C 0E337118
	v_mfma_f32_16x16x32_fp8_fp8 v[140:143], a[26:27], v[186:187], v[140:143]// 0000000035A8: D3F3008C 0E33751A
	buffer_load_dwordx4 a[92:95], v33, s[92:95], 0 offen offset:3072// 0000000035B0: E05C1C00 80975C21
	v_mfma_f32_16x16x32_fp8_fp8 v[140:143], a[28:29], v[188:189], v[140:143]// 0000000035B8: D3F3008C 0E33791C
	v_mfma_f32_16x16x32_fp8_fp8 v[140:143], a[30:31], v[190:191], v[140:143]// 0000000035C0: D3F3008C 0E337D1E
	buffer_load_dword v31, s[20:23], 0 offen lds               // 0000000035C8: E0511000 8005001F
	s_add_u32 m0, 0, s50                                       // 0000000035D0: 807C3280
	s_waitcnt vmcnt(20)                                        // 0000000035D4: BF8C4F74
	v_mfma_f32_16x16x32_fp8_fp8 v[144:147], a[32:33], v[160:161], v[144:147]// 0000000035D8: D3F30090 0E434120
	v_mfma_f32_16x16x32_fp8_fp8 v[144:147], a[34:35], v[162:163], v[144:147]// 0000000035E0: D3F30090 0E434522
	buffer_load_dwordx4 a[96:99], v34, s[92:95], 0 offen       // 0000000035E8: E05C1000 80976022
	v_mfma_f32_16x16x32_fp8_fp8 v[144:147], a[36:37], v[164:165], v[144:147]// 0000000035F0: D3F30090 0E434924
	v_mfma_f32_16x16x32_fp8_fp8 v[144:147], a[38:39], v[166:167], v[144:147]// 0000000035F8: D3F30090 0E434D26
	v_mfma_f32_16x16x32_fp8_fp8 v[144:147], a[40:41], v[168:169], v[144:147]// 000000003600: D3F30090 0E435128
	v_mfma_f32_16x16x32_fp8_fp8 v[144:147], a[42:43], v[170:171], v[144:147]// 000000003608: D3F30090 0E43552A
	buffer_load_dwordx4 a[100:103], v34, s[92:95], 0 offen offset:1024// 000000003610: E05C1400 80976422
	v_mfma_f32_16x16x32_fp8_fp8 v[144:147], a[44:45], v[172:173], v[144:147]// 000000003618: D3F30090 0E43592C
	v_mfma_f32_16x16x32_fp8_fp8 v[144:147], a[46:47], v[174:175], v[144:147]// 000000003620: D3F30090 0E435D2E
	v_mfma_f32_16x16x32_fp8_fp8 v[148:151], a[32:33], v[176:177], v[148:151]// 000000003628: D3F30094 0E536120
	v_mfma_f32_16x16x32_fp8_fp8 v[148:151], a[34:35], v[178:179], v[148:151]// 000000003630: D3F30094 0E536522
	buffer_load_dwordx4 a[104:107], v34, s[92:95], 0 offen offset:2048// 000000003638: E05C1800 80976822
	v_mfma_f32_16x16x32_fp8_fp8 v[148:151], a[36:37], v[180:181], v[148:151]// 000000003640: D3F30094 0E536924
	v_mfma_f32_16x16x32_fp8_fp8 v[148:151], a[38:39], v[182:183], v[148:151]// 000000003648: D3F30094 0E536D26
	v_mfma_f32_16x16x32_fp8_fp8 v[148:151], a[40:41], v[184:185], v[148:151]// 000000003650: D3F30094 0E537128
	v_mfma_f32_16x16x32_fp8_fp8 v[148:151], a[42:43], v[186:187], v[148:151]// 000000003658: D3F30094 0E53752A
	buffer_load_dwordx4 a[108:111], v34, s[92:95], 0 offen offset:3072// 000000003660: E05C1C00 80976C22
	v_mfma_f32_16x16x32_fp8_fp8 v[148:151], a[44:45], v[188:189], v[148:151]// 000000003668: D3F30094 0E53792C
	v_mfma_f32_16x16x32_fp8_fp8 v[148:151], a[46:47], v[190:191], v[148:151]// 000000003670: D3F30094 0E537D2E
	s_waitcnt vmcnt(20)                                        // 000000003678: BF8C4F74
	v_mfma_f32_16x16x32_fp8_fp8 v[152:155], a[48:49], v[160:161], v[152:155]// 00000000367C: D3F30098 0E634130
	v_mfma_f32_16x16x32_fp8_fp8 v[152:155], a[50:51], v[162:163], v[152:155]// 000000003684: D3F30098 0E634532
	buffer_load_dwordx4 a[112:115], v35, s[92:95], 0 offen     // 00000000368C: E05C1000 80977023
	v_mfma_f32_16x16x32_fp8_fp8 v[152:155], a[52:53], v[164:165], v[152:155]// 000000003694: D3F30098 0E634934
	v_mfma_f32_16x16x32_fp8_fp8 v[152:155], a[54:55], v[166:167], v[152:155]// 00000000369C: D3F30098 0E634D36
	v_mfma_f32_16x16x32_fp8_fp8 v[152:155], a[56:57], v[168:169], v[152:155]// 0000000036A4: D3F30098 0E635138
	v_mfma_f32_16x16x32_fp8_fp8 v[152:155], a[58:59], v[170:171], v[152:155]// 0000000036AC: D3F30098 0E63553A
	buffer_load_dwordx4 a[116:119], v35, s[92:95], 0 offen offset:1024// 0000000036B4: E05C1400 80977423
	v_mfma_f32_16x16x32_fp8_fp8 v[152:155], a[60:61], v[172:173], v[152:155]// 0000000036BC: D3F30098 0E63593C
	v_mfma_f32_16x16x32_fp8_fp8 v[152:155], a[62:63], v[174:175], v[152:155]// 0000000036C4: D3F30098 0E635D3E
	v_mfma_f32_16x16x32_fp8_fp8 v[156:159], a[48:49], v[176:177], v[156:159]// 0000000036CC: D3F3009C 0E736130
	v_mfma_f32_16x16x32_fp8_fp8 v[156:159], a[50:51], v[178:179], v[156:159]// 0000000036D4: D3F3009C 0E736532
	buffer_load_dwordx4 a[120:123], v35, s[92:95], 0 offen offset:2048// 0000000036DC: E05C1800 80977823
	v_mfma_f32_16x16x32_fp8_fp8 v[156:159], a[52:53], v[180:181], v[156:159]// 0000000036E4: D3F3009C 0E736934
	v_mfma_f32_16x16x32_fp8_fp8 v[156:159], a[54:55], v[182:183], v[156:159]// 0000000036EC: D3F3009C 0E736D36
	v_mfma_f32_16x16x32_fp8_fp8 v[156:159], a[56:57], v[184:185], v[156:159]// 0000000036F4: D3F3009C 0E737138
	v_mfma_f32_16x16x32_fp8_fp8 v[156:159], a[58:59], v[186:187], v[156:159]// 0000000036FC: D3F3009C 0E73753A
	buffer_load_dwordx4 a[124:127], v35, s[92:95], 0 offen offset:3072// 000000003704: E05C1C00 80977C23
	v_mfma_f32_16x16x32_fp8_fp8 v[156:159], a[60:61], v[188:189], v[156:159]// 00000000370C: D3F3009C 0E73793C
	v_mfma_f32_16x16x32_fp8_fp8 v[156:159], a[62:63], v[190:191], v[156:159]// 000000003714: D3F3009C 0E737D3E
	s_waitcnt vmcnt(8)                                         // 00000000371C: BF8C0F78
	s_barrier                                                  // 000000003720: BF8A0000
	v_mfma_f32_16x16x32_fp8_fp8 v[64:67], a[64:65], v[160:161], v[64:67]// 000000003724: D3F30040 0D034140
	v_mfma_f32_16x16x32_fp8_fp8 v[64:67], a[66:67], v[162:163], v[64:67]// 00000000372C: D3F30040 0D034542
	buffer_load_dwordx4 a[0:3], v32, s[24:27], 0 offen         // 000000003734: E05C1000 80860020
	v_mfma_f32_16x16x32_fp8_fp8 v[64:67], a[68:69], v[164:165], v[64:67]// 00000000373C: D3F30040 0D034944
	v_mfma_f32_16x16x32_fp8_fp8 v[64:67], a[70:71], v[166:167], v[64:67]// 000000003744: D3F30040 0D034D46
	v_mfma_f32_16x16x32_fp8_fp8 v[64:67], a[72:73], v[168:169], v[64:67]// 00000000374C: D3F30040 0D035148
	v_mfma_f32_16x16x32_fp8_fp8 v[64:67], a[74:75], v[170:171], v[64:67]// 000000003754: D3F30040 0D03554A
	buffer_load_dwordx4 a[4:7], v32, s[24:27], 0 offen offset:1024// 00000000375C: E05C1400 80860420
	v_mfma_f32_16x16x32_fp8_fp8 v[64:67], a[76:77], v[172:173], v[64:67]// 000000003764: D3F30040 0D03594C
	v_mfma_f32_16x16x32_fp8_fp8 v[64:67], a[78:79], v[174:175], v[64:67]// 00000000376C: D3F30040 0D035D4E
	v_mfma_f32_16x16x32_fp8_fp8 v[68:71], a[64:65], v[176:177], v[68:71]// 000000003774: D3F30044 0D136140
	v_mfma_f32_16x16x32_fp8_fp8 v[68:71], a[66:67], v[178:179], v[68:71]// 00000000377C: D3F30044 0D136542
	buffer_load_dwordx4 a[8:11], v32, s[24:27], 0 offen offset:2048// 000000003784: E05C1800 80860820
	v_mfma_f32_16x16x32_fp8_fp8 v[68:71], a[68:69], v[180:181], v[68:71]// 00000000378C: D3F30044 0D136944
	v_mfma_f32_16x16x32_fp8_fp8 v[68:71], a[70:71], v[182:183], v[68:71]// 000000003794: D3F30044 0D136D46
	v_mfma_f32_16x16x32_fp8_fp8 v[68:71], a[72:73], v[184:185], v[68:71]// 00000000379C: D3F30044 0D137148
	v_mfma_f32_16x16x32_fp8_fp8 v[68:71], a[74:75], v[186:187], v[68:71]// 0000000037A4: D3F30044 0D13754A
	buffer_load_dwordx4 a[12:15], v32, s[24:27], 0 offen offset:3072// 0000000037AC: E05C1C00 80860C20
	v_mfma_f32_16x16x32_fp8_fp8 v[68:71], a[76:77], v[188:189], v[68:71]// 0000000037B4: D3F30044 0D13794C
	v_mfma_f32_16x16x32_fp8_fp8 v[68:71], a[78:79], v[190:191], v[68:71]// 0000000037BC: D3F30044 0D137D4E
	v_mfma_f32_16x16x32_fp8_fp8 v[72:75], a[80:81], v[160:161], v[72:75]// 0000000037C4: D3F30048 0D234150
	v_mfma_f32_16x16x32_fp8_fp8 v[72:75], a[82:83], v[162:163], v[72:75]// 0000000037CC: D3F30048 0D234552
	buffer_load_dwordx4 a[16:19], v33, s[24:27], 0 offen       // 0000000037D4: E05C1000 80861021
	v_mfma_f32_16x16x32_fp8_fp8 v[72:75], a[84:85], v[164:165], v[72:75]// 0000000037DC: D3F30048 0D234954
	v_mfma_f32_16x16x32_fp8_fp8 v[72:75], a[86:87], v[166:167], v[72:75]// 0000000037E4: D3F30048 0D234D56
	v_mfma_f32_16x16x32_fp8_fp8 v[72:75], a[88:89], v[168:169], v[72:75]// 0000000037EC: D3F30048 0D235158
	v_mfma_f32_16x16x32_fp8_fp8 v[72:75], a[90:91], v[170:171], v[72:75]// 0000000037F4: D3F30048 0D23555A
	buffer_load_dwordx4 a[20:23], v33, s[24:27], 0 offen offset:1024// 0000000037FC: E05C1400 80861421
	v_mfma_f32_16x16x32_fp8_fp8 v[72:75], a[92:93], v[172:173], v[72:75]// 000000003804: D3F30048 0D23595C
	v_mfma_f32_16x16x32_fp8_fp8 v[72:75], a[94:95], v[174:175], v[72:75]// 00000000380C: D3F30048 0D235D5E
	v_mfma_f32_16x16x32_fp8_fp8 v[76:79], a[80:81], v[176:177], v[76:79]// 000000003814: D3F3004C 0D336150
	v_mfma_f32_16x16x32_fp8_fp8 v[76:79], a[82:83], v[178:179], v[76:79]// 00000000381C: D3F3004C 0D336552
	buffer_load_dwordx4 a[24:27], v33, s[24:27], 0 offen offset:2048// 000000003824: E05C1800 80861821
	v_mfma_f32_16x16x32_fp8_fp8 v[76:79], a[84:85], v[180:181], v[76:79]// 00000000382C: D3F3004C 0D336954
	v_mfma_f32_16x16x32_fp8_fp8 v[76:79], a[86:87], v[182:183], v[76:79]// 000000003834: D3F3004C 0D336D56
	v_mfma_f32_16x16x32_fp8_fp8 v[76:79], a[88:89], v[184:185], v[76:79]// 00000000383C: D3F3004C 0D337158
	v_mfma_f32_16x16x32_fp8_fp8 v[76:79], a[90:91], v[186:187], v[76:79]// 000000003844: D3F3004C 0D33755A
	buffer_load_dwordx4 a[28:31], v33, s[24:27], 0 offen offset:3072// 00000000384C: E05C1C00 80861C21
	v_mfma_f32_16x16x32_fp8_fp8 v[76:79], a[92:93], v[188:189], v[76:79]// 000000003854: D3F3004C 0D33795C
	v_mfma_f32_16x16x32_fp8_fp8 v[76:79], a[94:95], v[190:191], v[76:79]// 00000000385C: D3F3004C 0D337D5E
	s_waitcnt vmcnt(12)                                        // 000000003864: BF8C0F7C
	v_mfma_f32_16x16x32_fp8_fp8 v[80:83], a[96:97], v[160:161], v[80:83]// 000000003868: D3F30050 0D434160
	v_mfma_f32_16x16x32_fp8_fp8 v[80:83], a[98:99], v[162:163], v[80:83]// 000000003870: D3F30050 0D434562
	buffer_load_dwordx4 a[32:35], v34, s[24:27], 0 offen       // 000000003878: E05C1000 80862022
	v_mfma_f32_16x16x32_fp8_fp8 v[80:83], a[100:101], v[164:165], v[80:83]// 000000003880: D3F30050 0D434964
	v_mfma_f32_16x16x32_fp8_fp8 v[80:83], a[102:103], v[166:167], v[80:83]// 000000003888: D3F30050 0D434D66
	ds_read_b128 v[192:195], v2 offset:8320                    // 000000003890: D9FE2080 C0000002
	v_mfma_f32_16x16x32_fp8_fp8 v[80:83], a[104:105], v[168:169], v[80:83]// 000000003898: D3F30050 0D435168
	v_mfma_f32_16x16x32_fp8_fp8 v[80:83], a[106:107], v[170:171], v[80:83]// 0000000038A0: D3F30050 0D43556A
	buffer_load_dwordx4 a[36:39], v34, s[24:27], 0 offen offset:1024// 0000000038A8: E05C1400 80862422
	v_mfma_f32_16x16x32_fp8_fp8 v[80:83], a[108:109], v[172:173], v[80:83]// 0000000038B0: D3F30050 0D43596C
	v_mfma_f32_16x16x32_fp8_fp8 v[80:83], a[110:111], v[174:175], v[80:83]// 0000000038B8: D3F30050 0D435D6E
	ds_read_b128 v[196:199], v2 offset:8384                    // 0000000038C0: D9FE20C0 C4000002
	v_mfma_f32_16x16x32_fp8_fp8 v[84:87], a[96:97], v[176:177], v[84:87]// 0000000038C8: D3F30054 0D536160
	v_mfma_f32_16x16x32_fp8_fp8 v[84:87], a[98:99], v[178:179], v[84:87]// 0000000038D0: D3F30054 0D536562
	buffer_load_dwordx4 a[40:43], v34, s[24:27], 0 offen offset:2048// 0000000038D8: E05C1800 80862822
	v_mfma_f32_16x16x32_fp8_fp8 v[84:87], a[100:101], v[180:181], v[84:87]// 0000000038E0: D3F30054 0D536964
	v_mfma_f32_16x16x32_fp8_fp8 v[84:87], a[102:103], v[182:183], v[84:87]// 0000000038E8: D3F30054 0D536D66
	ds_read_b128 v[200:203], v2 offset:8448                    // 0000000038F0: D9FE2100 C8000002
	v_mfma_f32_16x16x32_fp8_fp8 v[84:87], a[104:105], v[184:185], v[84:87]// 0000000038F8: D3F30054 0D537168
	v_mfma_f32_16x16x32_fp8_fp8 v[84:87], a[106:107], v[186:187], v[84:87]// 000000003900: D3F30054 0D53756A
	buffer_load_dwordx4 a[44:47], v34, s[24:27], 0 offen offset:3072// 000000003908: E05C1C00 80862C22
	v_mfma_f32_16x16x32_fp8_fp8 v[84:87], a[108:109], v[188:189], v[84:87]// 000000003910: D3F30054 0D53796C
	v_mfma_f32_16x16x32_fp8_fp8 v[84:87], a[110:111], v[190:191], v[84:87]// 000000003918: D3F30054 0D537D6E
	ds_read_b128 v[204:207], v2 offset:8512                    // 000000003920: D9FE2140 CC000002
	s_waitcnt vmcnt(12)                                        // 000000003928: BF8C0F7C
	v_mfma_f32_16x16x32_fp8_fp8 v[88:91], a[112:113], v[160:161], v[88:91]// 00000000392C: D3F30058 0D634170
	v_mfma_f32_16x16x32_fp8_fp8 v[88:91], a[114:115], v[162:163], v[88:91]// 000000003934: D3F30058 0D634572
	buffer_load_dwordx4 a[48:51], v35, s[24:27], 0 offen       // 00000000393C: E05C1000 80863023
	v_mfma_f32_16x16x32_fp8_fp8 v[88:91], a[116:117], v[164:165], v[88:91]// 000000003944: D3F30058 0D634974
	v_mfma_f32_16x16x32_fp8_fp8 v[88:91], a[118:119], v[166:167], v[88:91]// 00000000394C: D3F30058 0D634D76
	ds_read_b128 v[208:211], v2 offset:9344                    // 000000003954: D9FE2480 D0000002
	v_mfma_f32_16x16x32_fp8_fp8 v[88:91], a[120:121], v[168:169], v[88:91]// 00000000395C: D3F30058 0D635178
	v_mfma_f32_16x16x32_fp8_fp8 v[88:91], a[122:123], v[170:171], v[88:91]// 000000003964: D3F30058 0D63557A
	buffer_load_dwordx4 a[52:55], v35, s[24:27], 0 offen offset:1024// 00000000396C: E05C1400 80863423
	v_mfma_f32_16x16x32_fp8_fp8 v[88:91], a[124:125], v[172:173], v[88:91]// 000000003974: D3F30058 0D63597C
	v_mfma_f32_16x16x32_fp8_fp8 v[88:91], a[126:127], v[174:175], v[88:91]// 00000000397C: D3F30058 0D635D7E
	ds_read_b128 v[212:215], v2 offset:9408                    // 000000003984: D9FE24C0 D4000002
	v_mfma_f32_16x16x32_fp8_fp8 v[92:95], a[112:113], v[176:177], v[92:95]// 00000000398C: D3F3005C 0D736170
	v_mfma_f32_16x16x32_fp8_fp8 v[92:95], a[114:115], v[178:179], v[92:95]// 000000003994: D3F3005C 0D736572
	buffer_load_dwordx4 a[56:59], v35, s[24:27], 0 offen offset:2048// 00000000399C: E05C1800 80863823
	v_mfma_f32_16x16x32_fp8_fp8 v[92:95], a[116:117], v[180:181], v[92:95]// 0000000039A4: D3F3005C 0D736974
	v_mfma_f32_16x16x32_fp8_fp8 v[92:95], a[118:119], v[182:183], v[92:95]// 0000000039AC: D3F3005C 0D736D76
	ds_read_b128 v[216:219], v2 offset:9472                    // 0000000039B4: D9FE2500 D8000002
	v_mfma_f32_16x16x32_fp8_fp8 v[92:95], a[120:121], v[184:185], v[92:95]// 0000000039BC: D3F3005C 0D737178
	v_mfma_f32_16x16x32_fp8_fp8 v[92:95], a[122:123], v[186:187], v[92:95]// 0000000039C4: D3F3005C 0D73757A
	buffer_load_dwordx4 a[60:63], v35, s[24:27], 0 offen offset:3072// 0000000039CC: E05C1C00 80863C23
	v_mfma_f32_16x16x32_fp8_fp8 v[92:95], a[124:125], v[188:189], v[92:95]// 0000000039D4: D3F3005C 0D73797C
	v_mfma_f32_16x16x32_fp8_fp8 v[92:95], a[126:127], v[190:191], v[92:95]// 0000000039DC: D3F3005C 0D737D7E
	ds_read_b128 v[220:223], v2 offset:9536                    // 0000000039E4: D9FE2540 DC000002
	s_add_u32 s60, 0x200, s80                                  // 0000000039EC: 803C50FF 00000200
	s_cmp_lt_u32 s60, s81                                      // 0000000039F4: BF0A513C
	s_cselect_b32 s57, s57, 0                                  // 0000000039F8: 85398039
	s_add_u32 s60, 0x200, s80                                  // 0000000039FC: 803C50FF 00000200
	s_cmp_lt_u32 s60, s81                                      // 000000003A04: BF0A513C
	s_cselect_b32 s58, s58, 0                                  // 000000003A08: 853A803A
	s_add_u32 s20, s57, s20                                    // 000000003A0C: 80141439
	s_addc_u32 s21, 0, s21                                     // 000000003A10: 82151580
	s_add_u32 s24, s58, s24                                    // 000000003A14: 8018183A
	s_addc_u32 s25, 0, s25                                     // 000000003A18: 82191980
	s_add_u32 s92, s90, s92                                    // 000000003A1C: 805C5C5A
	s_addc_u32 s93, 0, s93                                     // 000000003A20: 825D5D80
	s_addk_i32 s80, 0x100                                      // 000000003A24: B7500100
	s_cmp_lt_i32 s80, s81                                      // 000000003A28: BF045150
	s_cbranch_scc0 label_0555                                  // 000000003A2C: BF840189
	s_waitcnt vmcnt(8) lgkmcnt(0)                              // 000000003A30: BF8C0078
	s_barrier                                                  // 000000003A34: BF8A0000
	v_mfma_f32_16x16x32_fp8_fp8 v[128:131], a[0:1], v[192:193], v[128:131]// 000000003A38: D3F30080 0E038100
	v_mfma_f32_16x16x32_fp8_fp8 v[128:131], a[2:3], v[194:195], v[128:131]// 000000003A40: D3F30080 0E038502
	buffer_load_dwordx4 a[64:67], v32, s[92:95], 0 offen       // 000000003A48: E05C1000 80974020
	v_mfma_f32_16x16x32_fp8_fp8 v[128:131], a[4:5], v[196:197], v[128:131]// 000000003A50: D3F30080 0E038904
	v_mfma_f32_16x16x32_fp8_fp8 v[128:131], a[6:7], v[198:199], v[128:131]// 000000003A58: D3F30080 0E038D06
	buffer_load_dword v24, s[20:23], 0 offen lds               // 000000003A60: E0511000 80050018
	s_add_u32 m0, 0x100, s50                                   // 000000003A68: 807C32FF 00000100
	v_mfma_f32_16x16x32_fp8_fp8 v[128:131], a[8:9], v[200:201], v[128:131]// 000000003A70: D3F30080 0E039108
	v_mfma_f32_16x16x32_fp8_fp8 v[128:131], a[10:11], v[202:203], v[128:131]// 000000003A78: D3F30080 0E03950A
	buffer_load_dwordx4 a[68:71], v32, s[92:95], 0 offen offset:1024// 000000003A80: E05C1400 80974420
	v_mfma_f32_16x16x32_fp8_fp8 v[128:131], a[12:13], v[204:205], v[128:131]// 000000003A88: D3F30080 0E03990C
	v_mfma_f32_16x16x32_fp8_fp8 v[128:131], a[14:15], v[206:207], v[128:131]// 000000003A90: D3F30080 0E039D0E
	buffer_load_dword v25, s[20:23], 0 offen lds               // 000000003A98: E0511000 80050019
	s_add_u32 m0, 0x200, s50                                   // 000000003AA0: 807C32FF 00000200
	v_mfma_f32_16x16x32_fp8_fp8 v[132:135], a[0:1], v[208:209], v[132:135]// 000000003AA8: D3F30084 0E13A100
	v_mfma_f32_16x16x32_fp8_fp8 v[132:135], a[2:3], v[210:211], v[132:135]// 000000003AB0: D3F30084 0E13A502
	buffer_load_dwordx4 a[72:75], v32, s[92:95], 0 offen offset:2048// 000000003AB8: E05C1800 80974820
	v_mfma_f32_16x16x32_fp8_fp8 v[132:135], a[4:5], v[212:213], v[132:135]// 000000003AC0: D3F30084 0E13A904
	v_mfma_f32_16x16x32_fp8_fp8 v[132:135], a[6:7], v[214:215], v[132:135]// 000000003AC8: D3F30084 0E13AD06
	buffer_load_dword v26, s[20:23], 0 offen lds               // 000000003AD0: E0511000 8005001A
	s_add_u32 m0, 0x300, s50                                   // 000000003AD8: 807C32FF 00000300
	v_mfma_f32_16x16x32_fp8_fp8 v[132:135], a[8:9], v[216:217], v[132:135]// 000000003AE0: D3F30084 0E13B108
	v_mfma_f32_16x16x32_fp8_fp8 v[132:135], a[10:11], v[218:219], v[132:135]// 000000003AE8: D3F30084 0E13B50A
	buffer_load_dwordx4 a[76:79], v32, s[92:95], 0 offen offset:3072// 000000003AF0: E05C1C00 80974C20
	v_mfma_f32_16x16x32_fp8_fp8 v[132:135], a[12:13], v[220:221], v[132:135]// 000000003AF8: D3F30084 0E13B90C
	v_mfma_f32_16x16x32_fp8_fp8 v[132:135], a[14:15], v[222:223], v[132:135]// 000000003B00: D3F30084 0E13BD0E
	buffer_load_dword v27, s[20:23], 0 offen lds               // 000000003B08: E0511000 8005001B
	s_add_u32 m0, 0x400, s50                                   // 000000003B10: 807C32FF 00000400
	v_mfma_f32_16x16x32_fp8_fp8 v[136:139], a[16:17], v[192:193], v[136:139]// 000000003B18: D3F30088 0E238110
	v_mfma_f32_16x16x32_fp8_fp8 v[136:139], a[18:19], v[194:195], v[136:139]// 000000003B20: D3F30088 0E238512
	buffer_load_dwordx4 a[80:83], v33, s[92:95], 0 offen       // 000000003B28: E05C1000 80975021
	v_mfma_f32_16x16x32_fp8_fp8 v[136:139], a[20:21], v[196:197], v[136:139]// 000000003B30: D3F30088 0E238914
	v_mfma_f32_16x16x32_fp8_fp8 v[136:139], a[22:23], v[198:199], v[136:139]// 000000003B38: D3F30088 0E238D16
	buffer_load_dword v28, s[20:23], 0 offen lds               // 000000003B40: E0511000 8005001C
	s_add_u32 m0, 0x500, s50                                   // 000000003B48: 807C32FF 00000500
	v_mfma_f32_16x16x32_fp8_fp8 v[136:139], a[24:25], v[200:201], v[136:139]// 000000003B50: D3F30088 0E239118
	v_mfma_f32_16x16x32_fp8_fp8 v[136:139], a[26:27], v[202:203], v[136:139]// 000000003B58: D3F30088 0E23951A
	buffer_load_dwordx4 a[84:87], v33, s[92:95], 0 offen offset:1024// 000000003B60: E05C1400 80975421
	v_mfma_f32_16x16x32_fp8_fp8 v[136:139], a[28:29], v[204:205], v[136:139]// 000000003B68: D3F30088 0E23991C
	v_mfma_f32_16x16x32_fp8_fp8 v[136:139], a[30:31], v[206:207], v[136:139]// 000000003B70: D3F30088 0E239D1E
	buffer_load_dword v29, s[20:23], 0 offen lds               // 000000003B78: E0511000 8005001D
	s_add_u32 m0, 0x600, s50                                   // 000000003B80: 807C32FF 00000600
	v_mfma_f32_16x16x32_fp8_fp8 v[140:143], a[16:17], v[208:209], v[140:143]// 000000003B88: D3F3008C 0E33A110
	v_mfma_f32_16x16x32_fp8_fp8 v[140:143], a[18:19], v[210:211], v[140:143]// 000000003B90: D3F3008C 0E33A512
	buffer_load_dwordx4 a[88:91], v33, s[92:95], 0 offen offset:2048// 000000003B98: E05C1800 80975821
	v_mfma_f32_16x16x32_fp8_fp8 v[140:143], a[20:21], v[212:213], v[140:143]// 000000003BA0: D3F3008C 0E33A914
	v_mfma_f32_16x16x32_fp8_fp8 v[140:143], a[22:23], v[214:215], v[140:143]// 000000003BA8: D3F3008C 0E33AD16
	buffer_load_dword v30, s[20:23], 0 offen lds               // 000000003BB0: E0511000 8005001E
	s_add_u32 m0, 0x700, s50                                   // 000000003BB8: 807C32FF 00000700
	v_mfma_f32_16x16x32_fp8_fp8 v[140:143], a[24:25], v[216:217], v[140:143]// 000000003BC0: D3F3008C 0E33B118
	v_mfma_f32_16x16x32_fp8_fp8 v[140:143], a[26:27], v[218:219], v[140:143]// 000000003BC8: D3F3008C 0E33B51A
	buffer_load_dwordx4 a[92:95], v33, s[92:95], 0 offen offset:3072// 000000003BD0: E05C1C00 80975C21
	v_mfma_f32_16x16x32_fp8_fp8 v[140:143], a[28:29], v[220:221], v[140:143]// 000000003BD8: D3F3008C 0E33B91C
	v_mfma_f32_16x16x32_fp8_fp8 v[140:143], a[30:31], v[222:223], v[140:143]// 000000003BE0: D3F3008C 0E33BD1E
	buffer_load_dword v31, s[20:23], 0 offen lds               // 000000003BE8: E0511000 8005001F
	s_add_u32 m0, 0, s51                                       // 000000003BF0: 807C3380
	s_waitcnt vmcnt(20)                                        // 000000003BF4: BF8C4F74
	v_mfma_f32_16x16x32_fp8_fp8 v[144:147], a[32:33], v[192:193], v[144:147]// 000000003BF8: D3F30090 0E438120
	v_mfma_f32_16x16x32_fp8_fp8 v[144:147], a[34:35], v[194:195], v[144:147]// 000000003C00: D3F30090 0E438522
	buffer_load_dwordx4 a[96:99], v34, s[92:95], 0 offen       // 000000003C08: E05C1000 80976022
	v_mfma_f32_16x16x32_fp8_fp8 v[144:147], a[36:37], v[196:197], v[144:147]// 000000003C10: D3F30090 0E438924
	v_mfma_f32_16x16x32_fp8_fp8 v[144:147], a[38:39], v[198:199], v[144:147]// 000000003C18: D3F30090 0E438D26
	v_mfma_f32_16x16x32_fp8_fp8 v[144:147], a[40:41], v[200:201], v[144:147]// 000000003C20: D3F30090 0E439128
	v_mfma_f32_16x16x32_fp8_fp8 v[144:147], a[42:43], v[202:203], v[144:147]// 000000003C28: D3F30090 0E43952A
	buffer_load_dwordx4 a[100:103], v34, s[92:95], 0 offen offset:1024// 000000003C30: E05C1400 80976422
	v_mfma_f32_16x16x32_fp8_fp8 v[144:147], a[44:45], v[204:205], v[144:147]// 000000003C38: D3F30090 0E43992C
	v_mfma_f32_16x16x32_fp8_fp8 v[144:147], a[46:47], v[206:207], v[144:147]// 000000003C40: D3F30090 0E439D2E
	v_mfma_f32_16x16x32_fp8_fp8 v[148:151], a[32:33], v[208:209], v[148:151]// 000000003C48: D3F30094 0E53A120
	v_mfma_f32_16x16x32_fp8_fp8 v[148:151], a[34:35], v[210:211], v[148:151]// 000000003C50: D3F30094 0E53A522
	buffer_load_dwordx4 a[104:107], v34, s[92:95], 0 offen offset:2048// 000000003C58: E05C1800 80976822
	v_mfma_f32_16x16x32_fp8_fp8 v[148:151], a[36:37], v[212:213], v[148:151]// 000000003C60: D3F30094 0E53A924
	v_mfma_f32_16x16x32_fp8_fp8 v[148:151], a[38:39], v[214:215], v[148:151]// 000000003C68: D3F30094 0E53AD26
	v_mfma_f32_16x16x32_fp8_fp8 v[148:151], a[40:41], v[216:217], v[148:151]// 000000003C70: D3F30094 0E53B128
	v_mfma_f32_16x16x32_fp8_fp8 v[148:151], a[42:43], v[218:219], v[148:151]// 000000003C78: D3F30094 0E53B52A
	buffer_load_dwordx4 a[108:111], v34, s[92:95], 0 offen offset:3072// 000000003C80: E05C1C00 80976C22
	v_mfma_f32_16x16x32_fp8_fp8 v[148:151], a[44:45], v[220:221], v[148:151]// 000000003C88: D3F30094 0E53B92C
	v_mfma_f32_16x16x32_fp8_fp8 v[148:151], a[46:47], v[222:223], v[148:151]// 000000003C90: D3F30094 0E53BD2E
	s_waitcnt vmcnt(20)                                        // 000000003C98: BF8C4F74
	v_mfma_f32_16x16x32_fp8_fp8 v[152:155], a[48:49], v[192:193], v[152:155]// 000000003C9C: D3F30098 0E638130
	v_mfma_f32_16x16x32_fp8_fp8 v[152:155], a[50:51], v[194:195], v[152:155]// 000000003CA4: D3F30098 0E638532
	buffer_load_dwordx4 a[112:115], v35, s[92:95], 0 offen     // 000000003CAC: E05C1000 80977023
	v_mfma_f32_16x16x32_fp8_fp8 v[152:155], a[52:53], v[196:197], v[152:155]// 000000003CB4: D3F30098 0E638934
	v_mfma_f32_16x16x32_fp8_fp8 v[152:155], a[54:55], v[198:199], v[152:155]// 000000003CBC: D3F30098 0E638D36
	v_mfma_f32_16x16x32_fp8_fp8 v[152:155], a[56:57], v[200:201], v[152:155]// 000000003CC4: D3F30098 0E639138
	v_mfma_f32_16x16x32_fp8_fp8 v[152:155], a[58:59], v[202:203], v[152:155]// 000000003CCC: D3F30098 0E63953A
	buffer_load_dwordx4 a[116:119], v35, s[92:95], 0 offen offset:1024// 000000003CD4: E05C1400 80977423
	v_mfma_f32_16x16x32_fp8_fp8 v[152:155], a[60:61], v[204:205], v[152:155]// 000000003CDC: D3F30098 0E63993C
	v_mfma_f32_16x16x32_fp8_fp8 v[152:155], a[62:63], v[206:207], v[152:155]// 000000003CE4: D3F30098 0E639D3E
	v_mfma_f32_16x16x32_fp8_fp8 v[156:159], a[48:49], v[208:209], v[156:159]// 000000003CEC: D3F3009C 0E73A130
	v_mfma_f32_16x16x32_fp8_fp8 v[156:159], a[50:51], v[210:211], v[156:159]// 000000003CF4: D3F3009C 0E73A532
	buffer_load_dwordx4 a[120:123], v35, s[92:95], 0 offen offset:2048// 000000003CFC: E05C1800 80977823
	v_mfma_f32_16x16x32_fp8_fp8 v[156:159], a[52:53], v[212:213], v[156:159]// 000000003D04: D3F3009C 0E73A934
	v_mfma_f32_16x16x32_fp8_fp8 v[156:159], a[54:55], v[214:215], v[156:159]// 000000003D0C: D3F3009C 0E73AD36
	v_mfma_f32_16x16x32_fp8_fp8 v[156:159], a[56:57], v[216:217], v[156:159]// 000000003D14: D3F3009C 0E73B138
	v_mfma_f32_16x16x32_fp8_fp8 v[156:159], a[58:59], v[218:219], v[156:159]// 000000003D1C: D3F3009C 0E73B53A
	buffer_load_dwordx4 a[124:127], v35, s[92:95], 0 offen offset:3072// 000000003D24: E05C1C00 80977C23
	v_mfma_f32_16x16x32_fp8_fp8 v[156:159], a[60:61], v[220:221], v[156:159]// 000000003D2C: D3F3009C 0E73B93C
	v_mfma_f32_16x16x32_fp8_fp8 v[156:159], a[62:63], v[222:223], v[156:159]// 000000003D34: D3F3009C 0E73BD3E
	s_waitcnt vmcnt(8)                                         // 000000003D3C: BF8C0F78
	s_barrier                                                  // 000000003D40: BF8A0000
	v_mfma_f32_16x16x32_fp8_fp8 v[64:67], a[64:65], v[192:193], v[64:67]// 000000003D44: D3F30040 0D038140
	v_mfma_f32_16x16x32_fp8_fp8 v[64:67], a[66:67], v[194:195], v[64:67]// 000000003D4C: D3F30040 0D038542
	buffer_load_dwordx4 a[0:3], v32, s[24:27], 0 offen         // 000000003D54: E05C1000 80860020
	v_mfma_f32_16x16x32_fp8_fp8 v[64:67], a[68:69], v[196:197], v[64:67]// 000000003D5C: D3F30040 0D038944
	v_mfma_f32_16x16x32_fp8_fp8 v[64:67], a[70:71], v[198:199], v[64:67]// 000000003D64: D3F30040 0D038D46
	v_mfma_f32_16x16x32_fp8_fp8 v[64:67], a[72:73], v[200:201], v[64:67]// 000000003D6C: D3F30040 0D039148
	v_mfma_f32_16x16x32_fp8_fp8 v[64:67], a[74:75], v[202:203], v[64:67]// 000000003D74: D3F30040 0D03954A
	buffer_load_dwordx4 a[4:7], v32, s[24:27], 0 offen offset:1024// 000000003D7C: E05C1400 80860420
	v_mfma_f32_16x16x32_fp8_fp8 v[64:67], a[76:77], v[204:205], v[64:67]// 000000003D84: D3F30040 0D03994C
	v_mfma_f32_16x16x32_fp8_fp8 v[64:67], a[78:79], v[206:207], v[64:67]// 000000003D8C: D3F30040 0D039D4E
	v_mfma_f32_16x16x32_fp8_fp8 v[68:71], a[64:65], v[208:209], v[68:71]// 000000003D94: D3F30044 0D13A140
	v_mfma_f32_16x16x32_fp8_fp8 v[68:71], a[66:67], v[210:211], v[68:71]// 000000003D9C: D3F30044 0D13A542
	buffer_load_dwordx4 a[8:11], v32, s[24:27], 0 offen offset:2048// 000000003DA4: E05C1800 80860820
	v_mfma_f32_16x16x32_fp8_fp8 v[68:71], a[68:69], v[212:213], v[68:71]// 000000003DAC: D3F30044 0D13A944
	v_mfma_f32_16x16x32_fp8_fp8 v[68:71], a[70:71], v[214:215], v[68:71]// 000000003DB4: D3F30044 0D13AD46
	v_mfma_f32_16x16x32_fp8_fp8 v[68:71], a[72:73], v[216:217], v[68:71]// 000000003DBC: D3F30044 0D13B148
	v_mfma_f32_16x16x32_fp8_fp8 v[68:71], a[74:75], v[218:219], v[68:71]// 000000003DC4: D3F30044 0D13B54A
	buffer_load_dwordx4 a[12:15], v32, s[24:27], 0 offen offset:3072// 000000003DCC: E05C1C00 80860C20
	v_mfma_f32_16x16x32_fp8_fp8 v[68:71], a[76:77], v[220:221], v[68:71]// 000000003DD4: D3F30044 0D13B94C
	v_mfma_f32_16x16x32_fp8_fp8 v[68:71], a[78:79], v[222:223], v[68:71]// 000000003DDC: D3F30044 0D13BD4E
	v_mfma_f32_16x16x32_fp8_fp8 v[72:75], a[80:81], v[192:193], v[72:75]// 000000003DE4: D3F30048 0D238150
	v_mfma_f32_16x16x32_fp8_fp8 v[72:75], a[82:83], v[194:195], v[72:75]// 000000003DEC: D3F30048 0D238552
	buffer_load_dwordx4 a[16:19], v33, s[24:27], 0 offen       // 000000003DF4: E05C1000 80861021
	v_mfma_f32_16x16x32_fp8_fp8 v[72:75], a[84:85], v[196:197], v[72:75]// 000000003DFC: D3F30048 0D238954
	v_mfma_f32_16x16x32_fp8_fp8 v[72:75], a[86:87], v[198:199], v[72:75]// 000000003E04: D3F30048 0D238D56
	v_mfma_f32_16x16x32_fp8_fp8 v[72:75], a[88:89], v[200:201], v[72:75]// 000000003E0C: D3F30048 0D239158
	v_mfma_f32_16x16x32_fp8_fp8 v[72:75], a[90:91], v[202:203], v[72:75]// 000000003E14: D3F30048 0D23955A
	buffer_load_dwordx4 a[20:23], v33, s[24:27], 0 offen offset:1024// 000000003E1C: E05C1400 80861421
	v_mfma_f32_16x16x32_fp8_fp8 v[72:75], a[92:93], v[204:205], v[72:75]// 000000003E24: D3F30048 0D23995C
	v_mfma_f32_16x16x32_fp8_fp8 v[72:75], a[94:95], v[206:207], v[72:75]// 000000003E2C: D3F30048 0D239D5E
	v_mfma_f32_16x16x32_fp8_fp8 v[76:79], a[80:81], v[208:209], v[76:79]// 000000003E34: D3F3004C 0D33A150
	v_mfma_f32_16x16x32_fp8_fp8 v[76:79], a[82:83], v[210:211], v[76:79]// 000000003E3C: D3F3004C 0D33A552
	buffer_load_dwordx4 a[24:27], v33, s[24:27], 0 offen offset:2048// 000000003E44: E05C1800 80861821
	v_mfma_f32_16x16x32_fp8_fp8 v[76:79], a[84:85], v[212:213], v[76:79]// 000000003E4C: D3F3004C 0D33A954
	v_mfma_f32_16x16x32_fp8_fp8 v[76:79], a[86:87], v[214:215], v[76:79]// 000000003E54: D3F3004C 0D33AD56
	v_mfma_f32_16x16x32_fp8_fp8 v[76:79], a[88:89], v[216:217], v[76:79]// 000000003E5C: D3F3004C 0D33B158
	v_mfma_f32_16x16x32_fp8_fp8 v[76:79], a[90:91], v[218:219], v[76:79]// 000000003E64: D3F3004C 0D33B55A
	buffer_load_dwordx4 a[28:31], v33, s[24:27], 0 offen offset:3072// 000000003E6C: E05C1C00 80861C21
	v_mfma_f32_16x16x32_fp8_fp8 v[76:79], a[92:93], v[220:221], v[76:79]// 000000003E74: D3F3004C 0D33B95C
	v_mfma_f32_16x16x32_fp8_fp8 v[76:79], a[94:95], v[222:223], v[76:79]// 000000003E7C: D3F3004C 0D33BD5E
	s_waitcnt vmcnt(12)                                        // 000000003E84: BF8C0F7C
	v_mfma_f32_16x16x32_fp8_fp8 v[80:83], a[96:97], v[192:193], v[80:83]// 000000003E88: D3F30050 0D438160
	v_mfma_f32_16x16x32_fp8_fp8 v[80:83], a[98:99], v[194:195], v[80:83]// 000000003E90: D3F30050 0D438562
	buffer_load_dwordx4 a[32:35], v34, s[24:27], 0 offen       // 000000003E98: E05C1000 80862022
	v_mfma_f32_16x16x32_fp8_fp8 v[80:83], a[100:101], v[196:197], v[80:83]// 000000003EA0: D3F30050 0D438964
	v_mfma_f32_16x16x32_fp8_fp8 v[80:83], a[102:103], v[198:199], v[80:83]// 000000003EA8: D3F30050 0D438D66
	ds_read_b128 v[160:163], v2                                // 000000003EB0: D9FE0000 A0000002
	v_mfma_f32_16x16x32_fp8_fp8 v[80:83], a[104:105], v[200:201], v[80:83]// 000000003EB8: D3F30050 0D439168
	v_mfma_f32_16x16x32_fp8_fp8 v[80:83], a[106:107], v[202:203], v[80:83]// 000000003EC0: D3F30050 0D43956A
	buffer_load_dwordx4 a[36:39], v34, s[24:27], 0 offen offset:1024// 000000003EC8: E05C1400 80862422
	v_mfma_f32_16x16x32_fp8_fp8 v[80:83], a[108:109], v[204:205], v[80:83]// 000000003ED0: D3F30050 0D43996C
	v_mfma_f32_16x16x32_fp8_fp8 v[80:83], a[110:111], v[206:207], v[80:83]// 000000003ED8: D3F30050 0D439D6E
	ds_read_b128 v[164:167], v2 offset:64                      // 000000003EE0: D9FE0040 A4000002
	v_mfma_f32_16x16x32_fp8_fp8 v[84:87], a[96:97], v[208:209], v[84:87]// 000000003EE8: D3F30054 0D53A160
	v_mfma_f32_16x16x32_fp8_fp8 v[84:87], a[98:99], v[210:211], v[84:87]// 000000003EF0: D3F30054 0D53A562
	buffer_load_dwordx4 a[40:43], v34, s[24:27], 0 offen offset:2048// 000000003EF8: E05C1800 80862822
	v_mfma_f32_16x16x32_fp8_fp8 v[84:87], a[100:101], v[212:213], v[84:87]// 000000003F00: D3F30054 0D53A964
	v_mfma_f32_16x16x32_fp8_fp8 v[84:87], a[102:103], v[214:215], v[84:87]// 000000003F08: D3F30054 0D53AD66
	ds_read_b128 v[168:171], v2 offset:128                     // 000000003F10: D9FE0080 A8000002
	v_mfma_f32_16x16x32_fp8_fp8 v[84:87], a[104:105], v[216:217], v[84:87]// 000000003F18: D3F30054 0D53B168
	v_mfma_f32_16x16x32_fp8_fp8 v[84:87], a[106:107], v[218:219], v[84:87]// 000000003F20: D3F30054 0D53B56A
	buffer_load_dwordx4 a[44:47], v34, s[24:27], 0 offen offset:3072// 000000003F28: E05C1C00 80862C22
	v_mfma_f32_16x16x32_fp8_fp8 v[84:87], a[108:109], v[220:221], v[84:87]// 000000003F30: D3F30054 0D53B96C
	v_mfma_f32_16x16x32_fp8_fp8 v[84:87], a[110:111], v[222:223], v[84:87]// 000000003F38: D3F30054 0D53BD6E
	ds_read_b128 v[172:175], v2 offset:192                     // 000000003F40: D9FE00C0 AC000002
	s_waitcnt vmcnt(12)                                        // 000000003F48: BF8C0F7C
	v_mfma_f32_16x16x32_fp8_fp8 v[88:91], a[112:113], v[192:193], v[88:91]// 000000003F4C: D3F30058 0D638170
	v_mfma_f32_16x16x32_fp8_fp8 v[88:91], a[114:115], v[194:195], v[88:91]// 000000003F54: D3F30058 0D638572
	buffer_load_dwordx4 a[48:51], v35, s[24:27], 0 offen       // 000000003F5C: E05C1000 80863023
	v_mfma_f32_16x16x32_fp8_fp8 v[88:91], a[116:117], v[196:197], v[88:91]// 000000003F64: D3F30058 0D638974
	v_mfma_f32_16x16x32_fp8_fp8 v[88:91], a[118:119], v[198:199], v[88:91]// 000000003F6C: D3F30058 0D638D76
	ds_read_b128 v[176:179], v2 offset:1024                    // 000000003F74: D9FE0400 B0000002
	v_mfma_f32_16x16x32_fp8_fp8 v[88:91], a[120:121], v[200:201], v[88:91]// 000000003F7C: D3F30058 0D639178
	v_mfma_f32_16x16x32_fp8_fp8 v[88:91], a[122:123], v[202:203], v[88:91]// 000000003F84: D3F30058 0D63957A
	buffer_load_dwordx4 a[52:55], v35, s[24:27], 0 offen offset:1024// 000000003F8C: E05C1400 80863423
	v_mfma_f32_16x16x32_fp8_fp8 v[88:91], a[124:125], v[204:205], v[88:91]// 000000003F94: D3F30058 0D63997C
	v_mfma_f32_16x16x32_fp8_fp8 v[88:91], a[126:127], v[206:207], v[88:91]// 000000003F9C: D3F30058 0D639D7E
	ds_read_b128 v[180:183], v2 offset:1088                    // 000000003FA4: D9FE0440 B4000002
	v_mfma_f32_16x16x32_fp8_fp8 v[92:95], a[112:113], v[208:209], v[92:95]// 000000003FAC: D3F3005C 0D73A170
	v_mfma_f32_16x16x32_fp8_fp8 v[92:95], a[114:115], v[210:211], v[92:95]// 000000003FB4: D3F3005C 0D73A572
	buffer_load_dwordx4 a[56:59], v35, s[24:27], 0 offen offset:2048// 000000003FBC: E05C1800 80863823
	v_mfma_f32_16x16x32_fp8_fp8 v[92:95], a[116:117], v[212:213], v[92:95]// 000000003FC4: D3F3005C 0D73A974
	v_mfma_f32_16x16x32_fp8_fp8 v[92:95], a[118:119], v[214:215], v[92:95]// 000000003FCC: D3F3005C 0D73AD76
	ds_read_b128 v[184:187], v2 offset:1152                    // 000000003FD4: D9FE0480 B8000002
	v_mfma_f32_16x16x32_fp8_fp8 v[92:95], a[120:121], v[216:217], v[92:95]// 000000003FDC: D3F3005C 0D73B178
	v_mfma_f32_16x16x32_fp8_fp8 v[92:95], a[122:123], v[218:219], v[92:95]// 000000003FE4: D3F3005C 0D73B57A
	buffer_load_dwordx4 a[60:63], v35, s[24:27], 0 offen offset:3072// 000000003FEC: E05C1C00 80863C23
	v_mfma_f32_16x16x32_fp8_fp8 v[92:95], a[124:125], v[220:221], v[92:95]// 000000003FF4: D3F3005C 0D73B97C
	v_mfma_f32_16x16x32_fp8_fp8 v[92:95], a[126:127], v[222:223], v[92:95]// 000000003FFC: D3F3005C 0D73BD7E
	ds_read_b128 v[188:191], v2 offset:1216                    // 000000004004: D9FE04C0 BC000002
	s_add_u32 s60, 0x200, s80                                  // 00000000400C: 803C50FF 00000200
	s_cmp_lt_u32 s60, s81                                      // 000000004014: BF0A513C
	s_cselect_b32 s57, s57, 0                                  // 000000004018: 85398039
	s_add_u32 s60, 0x200, s80                                  // 00000000401C: 803C50FF 00000200
	s_cmp_lt_u32 s60, s81                                      // 000000004024: BF0A513C
	s_cselect_b32 s58, s58, 0                                  // 000000004028: 853A803A
	s_add_u32 s20, s57, s20                                    // 00000000402C: 80141439
	s_addc_u32 s21, 0, s21                                     // 000000004030: 82151580
	s_add_u32 s24, s58, s24                                    // 000000004034: 8018183A
	s_addc_u32 s25, 0, s25                                     // 000000004038: 82191980
	s_add_u32 s92, s90, s92                                    // 00000000403C: 805C5C5A
	s_addc_u32 s93, 0, s93                                     // 000000004040: 825D5D80
	s_addk_i32 s80, 0x100                                      // 000000004044: B7500100
	s_cmp_lt_i32 s80, s81                                      // 000000004048: BF045150
	s_cbranch_scc0 label_0555                                  // 00000000404C: BF840001
	s_branch label_0244                                        // 000000004050: BF82FCEF

0000000000004054 <label_0555>:
	s_mov_b32 s36, -1                                          // 000000004054: BEA400C1
	s_mov_b32 s37, -1                                          // 000000004058: BEA500C1
	s_mov_b64 s[60:61], 0                                      // 00000000405C: BEBC0180
	s_cmp_lt_u32 s82, s66                                      // 000000004060: BF0A4252
	s_cselect_b64 s[20:21], s[36:37], s[60:61]                 // 000000004064: 85943C24
	s_cmp_lt_u32 s83, s66                                      // 000000004068: BF0A4253
	s_cselect_b64 s[22:23], s[36:37], s[60:61]                 // 00000000406C: 85963C24
	s_cmp_lt_u32 s84, s66                                      // 000000004070: BF0A4254
	s_cselect_b64 s[24:25], s[36:37], s[60:61]                 // 000000004074: 85983C24
	s_cmp_lt_u32 s85, s66                                      // 000000004078: BF0A4255
	s_cselect_b64 s[26:27], s[36:37], s[60:61]                 // 00000000407C: 859A3C24
	s_cmp_lt_u32 s86, s66                                      // 000000004080: BF0A4256
	s_cselect_b64 s[28:29], s[36:37], s[60:61]                 // 000000004084: 859C3C24
	s_cmp_lt_u32 s87, s66                                      // 000000004088: BF0A4257
	s_cselect_b64 s[30:31], s[36:37], s[60:61]                 // 00000000408C: 859E3C24
	s_cmp_lt_u32 s88, s66                                      // 000000004090: BF0A4258
	s_cselect_b64 s[32:33], s[36:37], s[60:61]                 // 000000004094: 85A03C24
	s_cmp_lt_u32 s89, s66                                      // 000000004098: BF0A4259
	s_cselect_b64 s[34:35], s[36:37], s[60:61]                 // 00000000409C: 85A23C24
	v_mul_f32_e32 v128, v13, v128                              // 0000000040A0: 0B01010D
	v_mul_f32_e32 v129, v13, v129                              // 0000000040A4: 0B03030D
	v_mul_f32_e32 v130, v13, v130                              // 0000000040A8: 0B05050D
	v_mul_f32_e32 v131, v13, v131                              // 0000000040AC: 0B07070D
	v_mul_f32_dpp v128, v15, v128 row_newbcast:0 row_mask:0xf bank_mask:0xf// 0000000040B0: 0B0100FA FF01500F
	v_mul_f32_dpp v129, v15, v129 row_newbcast:1 row_mask:0xf bank_mask:0xf// 0000000040B8: 0B0302FA FF01510F
	v_mul_f32_dpp v130, v15, v130 row_newbcast:2 row_mask:0xf bank_mask:0xf// 0000000040C0: 0B0504FA FF01520F
	v_mul_f32_dpp v131, v15, v131 row_newbcast:3 row_mask:0xf bank_mask:0xf// 0000000040C8: 0B0706FA FF01530F
	v_mul_f32_e32 v132, v14, v132                              // 0000000040D0: 0B09090E
	v_mul_f32_e32 v133, v14, v133                              // 0000000040D4: 0B0B0B0E
	v_mul_f32_e32 v134, v14, v134                              // 0000000040D8: 0B0D0D0E
	v_mul_f32_e32 v135, v14, v135                              // 0000000040DC: 0B0F0F0E
	v_mul_f32_dpp v132, v15, v132 row_newbcast:0 row_mask:0xf bank_mask:0xf// 0000000040E0: 0B0908FA FF01500F
	v_mul_f32_dpp v133, v15, v133 row_newbcast:1 row_mask:0xf bank_mask:0xf// 0000000040E8: 0B0B0AFA FF01510F
	v_mul_f32_dpp v134, v15, v134 row_newbcast:2 row_mask:0xf bank_mask:0xf// 0000000040F0: 0B0D0CFA FF01520F
	v_mul_f32_dpp v135, v15, v135 row_newbcast:3 row_mask:0xf bank_mask:0xf// 0000000040F8: 0B0F0EFA FF01530F
	v_mul_f32_e32 v136, v13, v136                              // 000000004100: 0B11110D
	v_mul_f32_e32 v137, v13, v137                              // 000000004104: 0B13130D
	v_mul_f32_e32 v138, v13, v138                              // 000000004108: 0B15150D
	v_mul_f32_e32 v139, v13, v139                              // 00000000410C: 0B17170D
	v_mul_f32_dpp v136, v15, v136 row_newbcast:4 row_mask:0xf bank_mask:0xf// 000000004110: 0B1110FA FF01540F
	v_mul_f32_dpp v137, v15, v137 row_newbcast:5 row_mask:0xf bank_mask:0xf// 000000004118: 0B1312FA FF01550F
	v_mul_f32_dpp v138, v15, v138 row_newbcast:6 row_mask:0xf bank_mask:0xf// 000000004120: 0B1514FA FF01560F
	v_mul_f32_dpp v139, v15, v139 row_newbcast:7 row_mask:0xf bank_mask:0xf// 000000004128: 0B1716FA FF01570F
	v_mul_f32_e32 v140, v14, v140                              // 000000004130: 0B19190E
	v_mul_f32_e32 v141, v14, v141                              // 000000004134: 0B1B1B0E
	v_mul_f32_e32 v142, v14, v142                              // 000000004138: 0B1D1D0E
	v_mul_f32_e32 v143, v14, v143                              // 00000000413C: 0B1F1F0E
	v_mul_f32_dpp v140, v15, v140 row_newbcast:4 row_mask:0xf bank_mask:0xf// 000000004140: 0B1918FA FF01540F
	v_mul_f32_dpp v141, v15, v141 row_newbcast:5 row_mask:0xf bank_mask:0xf// 000000004148: 0B1B1AFA FF01550F
	v_mul_f32_dpp v142, v15, v142 row_newbcast:6 row_mask:0xf bank_mask:0xf// 000000004150: 0B1D1CFA FF01560F
	v_mul_f32_dpp v143, v15, v143 row_newbcast:7 row_mask:0xf bank_mask:0xf// 000000004158: 0B1F1EFA FF01570F
	v_mul_f32_e32 v144, v13, v144                              // 000000004160: 0B21210D
	v_mul_f32_e32 v145, v13, v145                              // 000000004164: 0B23230D
	v_mul_f32_e32 v146, v13, v146                              // 000000004168: 0B25250D
	v_mul_f32_e32 v147, v13, v147                              // 00000000416C: 0B27270D
	v_mul_f32_dpp v144, v15, v144 row_newbcast:8 row_mask:0xf bank_mask:0xf// 000000004170: 0B2120FA FF01580F
	v_mul_f32_dpp v145, v15, v145 row_newbcast:9 row_mask:0xf bank_mask:0xf// 000000004178: 0B2322FA FF01590F
	v_mul_f32_dpp v146, v15, v146 row_newbcast:10 row_mask:0xf bank_mask:0xf// 000000004180: 0B2524FA FF015A0F
	v_mul_f32_dpp v147, v15, v147 row_newbcast:11 row_mask:0xf bank_mask:0xf// 000000004188: 0B2726FA FF015B0F
	v_mul_f32_e32 v148, v14, v148                              // 000000004190: 0B29290E
	v_mul_f32_e32 v149, v14, v149                              // 000000004194: 0B2B2B0E
	v_mul_f32_e32 v150, v14, v150                              // 000000004198: 0B2D2D0E
	v_mul_f32_e32 v151, v14, v151                              // 00000000419C: 0B2F2F0E
	v_mul_f32_dpp v148, v15, v148 row_newbcast:8 row_mask:0xf bank_mask:0xf// 0000000041A0: 0B2928FA FF01580F
	v_mul_f32_dpp v149, v15, v149 row_newbcast:9 row_mask:0xf bank_mask:0xf// 0000000041A8: 0B2B2AFA FF01590F
	v_mul_f32_dpp v150, v15, v150 row_newbcast:10 row_mask:0xf bank_mask:0xf// 0000000041B0: 0B2D2CFA FF015A0F
	v_mul_f32_dpp v151, v15, v151 row_newbcast:11 row_mask:0xf bank_mask:0xf// 0000000041B8: 0B2F2EFA FF015B0F
	v_mul_f32_e32 v152, v13, v152                              // 0000000041C0: 0B31310D
	v_mul_f32_e32 v153, v13, v153                              // 0000000041C4: 0B33330D
	v_mul_f32_e32 v154, v13, v154                              // 0000000041C8: 0B35350D
	v_mul_f32_e32 v155, v13, v155                              // 0000000041CC: 0B37370D
	v_mul_f32_dpp v152, v15, v152 row_newbcast:12 row_mask:0xf bank_mask:0xf// 0000000041D0: 0B3130FA FF015C0F
	v_mul_f32_dpp v153, v15, v153 row_newbcast:13 row_mask:0xf bank_mask:0xf// 0000000041D8: 0B3332FA FF015D0F
	v_mul_f32_dpp v154, v15, v154 row_newbcast:14 row_mask:0xf bank_mask:0xf// 0000000041E0: 0B3534FA FF015E0F
	v_mul_f32_dpp v155, v15, v155 row_newbcast:15 row_mask:0xf bank_mask:0xf// 0000000041E8: 0B3736FA FF015F0F
	v_mul_f32_e32 v156, v14, v156                              // 0000000041F0: 0B39390E
	v_mul_f32_e32 v157, v14, v157                              // 0000000041F4: 0B3B3B0E
	v_mul_f32_e32 v158, v14, v158                              // 0000000041F8: 0B3D3D0E
	v_mul_f32_e32 v159, v14, v159                              // 0000000041FC: 0B3F3F0E
	v_mul_f32_dpp v156, v15, v156 row_newbcast:12 row_mask:0xf bank_mask:0xf// 000000004200: 0B3938FA FF015C0F
	v_mul_f32_dpp v157, v15, v157 row_newbcast:13 row_mask:0xf bank_mask:0xf// 000000004208: 0B3B3AFA FF015D0F
	v_mul_f32_dpp v158, v15, v158 row_newbcast:14 row_mask:0xf bank_mask:0xf// 000000004210: 0B3D3CFA FF015E0F
	v_mul_f32_dpp v159, v15, v159 row_newbcast:15 row_mask:0xf bank_mask:0xf// 000000004218: 0B3F3EFA FF015F0F
	v_mul_f32_e32 v64, v13, v64                                // 000000004220: 0A80810D
	v_mul_f32_e32 v65, v13, v65                                // 000000004224: 0A82830D
	v_mul_f32_e32 v66, v13, v66                                // 000000004228: 0A84850D
	v_mul_f32_e32 v67, v13, v67                                // 00000000422C: 0A86870D
	v_mul_f32_dpp v64, v44, v64 row_newbcast:0 row_mask:0xf bank_mask:0xf// 000000004230: 0A8080FA FF01502C
	v_mul_f32_dpp v65, v44, v65 row_newbcast:1 row_mask:0xf bank_mask:0xf// 000000004238: 0A8282FA FF01512C
	v_mul_f32_dpp v66, v44, v66 row_newbcast:2 row_mask:0xf bank_mask:0xf// 000000004240: 0A8484FA FF01522C
	v_mul_f32_dpp v67, v44, v67 row_newbcast:3 row_mask:0xf bank_mask:0xf// 000000004248: 0A8686FA FF01532C
	v_mul_f32_e32 v68, v14, v68                                // 000000004250: 0A88890E
	v_mul_f32_e32 v69, v14, v69                                // 000000004254: 0A8A8B0E
	v_mul_f32_e32 v70, v14, v70                                // 000000004258: 0A8C8D0E
	v_mul_f32_e32 v71, v14, v71                                // 00000000425C: 0A8E8F0E
	v_mul_f32_dpp v68, v44, v68 row_newbcast:0 row_mask:0xf bank_mask:0xf// 000000004260: 0A8888FA FF01502C
	v_mul_f32_dpp v69, v44, v69 row_newbcast:1 row_mask:0xf bank_mask:0xf// 000000004268: 0A8A8AFA FF01512C
	v_mul_f32_dpp v70, v44, v70 row_newbcast:2 row_mask:0xf bank_mask:0xf// 000000004270: 0A8C8CFA FF01522C
	v_mul_f32_dpp v71, v44, v71 row_newbcast:3 row_mask:0xf bank_mask:0xf// 000000004278: 0A8E8EFA FF01532C
	v_mul_f32_e32 v72, v13, v72                                // 000000004280: 0A90910D
	v_mul_f32_e32 v73, v13, v73                                // 000000004284: 0A92930D
	v_mul_f32_e32 v74, v13, v74                                // 000000004288: 0A94950D
	v_mul_f32_e32 v75, v13, v75                                // 00000000428C: 0A96970D
	v_mul_f32_dpp v72, v44, v72 row_newbcast:4 row_mask:0xf bank_mask:0xf// 000000004290: 0A9090FA FF01542C
	v_mul_f32_dpp v73, v44, v73 row_newbcast:5 row_mask:0xf bank_mask:0xf// 000000004298: 0A9292FA FF01552C
	v_mul_f32_dpp v74, v44, v74 row_newbcast:6 row_mask:0xf bank_mask:0xf// 0000000042A0: 0A9494FA FF01562C
	v_mul_f32_dpp v75, v44, v75 row_newbcast:7 row_mask:0xf bank_mask:0xf// 0000000042A8: 0A9696FA FF01572C
	v_mul_f32_e32 v76, v14, v76                                // 0000000042B0: 0A98990E
	v_mul_f32_e32 v77, v14, v77                                // 0000000042B4: 0A9A9B0E
	v_mul_f32_e32 v78, v14, v78                                // 0000000042B8: 0A9C9D0E
	v_mul_f32_e32 v79, v14, v79                                // 0000000042BC: 0A9E9F0E
	v_mul_f32_dpp v76, v44, v76 row_newbcast:4 row_mask:0xf bank_mask:0xf// 0000000042C0: 0A9898FA FF01542C
	v_mul_f32_dpp v77, v44, v77 row_newbcast:5 row_mask:0xf bank_mask:0xf// 0000000042C8: 0A9A9AFA FF01552C
	v_mul_f32_dpp v78, v44, v78 row_newbcast:6 row_mask:0xf bank_mask:0xf// 0000000042D0: 0A9C9CFA FF01562C
	v_mul_f32_dpp v79, v44, v79 row_newbcast:7 row_mask:0xf bank_mask:0xf// 0000000042D8: 0A9E9EFA FF01572C
	v_mul_f32_e32 v80, v13, v80                                // 0000000042E0: 0AA0A10D
	v_mul_f32_e32 v81, v13, v81                                // 0000000042E4: 0AA2A30D
	v_mul_f32_e32 v82, v13, v82                                // 0000000042E8: 0AA4A50D
	v_mul_f32_e32 v83, v13, v83                                // 0000000042EC: 0AA6A70D
	v_mul_f32_dpp v80, v44, v80 row_newbcast:8 row_mask:0xf bank_mask:0xf// 0000000042F0: 0AA0A0FA FF01582C
	v_mul_f32_dpp v81, v44, v81 row_newbcast:9 row_mask:0xf bank_mask:0xf// 0000000042F8: 0AA2A2FA FF01592C
	v_mul_f32_dpp v82, v44, v82 row_newbcast:10 row_mask:0xf bank_mask:0xf// 000000004300: 0AA4A4FA FF015A2C
	v_mul_f32_dpp v83, v44, v83 row_newbcast:11 row_mask:0xf bank_mask:0xf// 000000004308: 0AA6A6FA FF015B2C
	v_mul_f32_e32 v84, v14, v84                                // 000000004310: 0AA8A90E
	v_mul_f32_e32 v85, v14, v85                                // 000000004314: 0AAAAB0E
	v_mul_f32_e32 v86, v14, v86                                // 000000004318: 0AACAD0E
	v_mul_f32_e32 v87, v14, v87                                // 00000000431C: 0AAEAF0E
	v_mul_f32_dpp v84, v44, v84 row_newbcast:8 row_mask:0xf bank_mask:0xf// 000000004320: 0AA8A8FA FF01582C
	v_mul_f32_dpp v85, v44, v85 row_newbcast:9 row_mask:0xf bank_mask:0xf// 000000004328: 0AAAAAFA FF01592C
	v_mul_f32_dpp v86, v44, v86 row_newbcast:10 row_mask:0xf bank_mask:0xf// 000000004330: 0AACACFA FF015A2C
	v_mul_f32_dpp v87, v44, v87 row_newbcast:11 row_mask:0xf bank_mask:0xf// 000000004338: 0AAEAEFA FF015B2C
	v_mul_f32_e32 v88, v13, v88                                // 000000004340: 0AB0B10D
	v_mul_f32_e32 v89, v13, v89                                // 000000004344: 0AB2B30D
	v_mul_f32_e32 v90, v13, v90                                // 000000004348: 0AB4B50D
	v_mul_f32_e32 v91, v13, v91                                // 00000000434C: 0AB6B70D
	v_mul_f32_dpp v88, v44, v88 row_newbcast:12 row_mask:0xf bank_mask:0xf// 000000004350: 0AB0B0FA FF015C2C
	v_mul_f32_dpp v89, v44, v89 row_newbcast:13 row_mask:0xf bank_mask:0xf// 000000004358: 0AB2B2FA FF015D2C
	v_mul_f32_dpp v90, v44, v90 row_newbcast:14 row_mask:0xf bank_mask:0xf// 000000004360: 0AB4B4FA FF015E2C
	v_mul_f32_dpp v91, v44, v91 row_newbcast:15 row_mask:0xf bank_mask:0xf// 000000004368: 0AB6B6FA FF015F2C
	v_mul_f32_e32 v92, v14, v92                                // 000000004370: 0AB8B90E
	v_mul_f32_e32 v93, v14, v93                                // 000000004374: 0ABABB0E
	v_mul_f32_e32 v94, v14, v94                                // 000000004378: 0ABCBD0E
	v_mul_f32_e32 v95, v14, v95                                // 00000000437C: 0ABEBF0E
	v_mul_f32_dpp v92, v44, v92 row_newbcast:12 row_mask:0xf bank_mask:0xf// 000000004380: 0AB8B8FA FF015C2C
	v_mul_f32_dpp v93, v44, v93 row_newbcast:13 row_mask:0xf bank_mask:0xf// 000000004388: 0ABABAFA FF015D2C
	v_mul_f32_dpp v94, v44, v94 row_newbcast:14 row_mask:0xf bank_mask:0xf// 000000004390: 0ABCBCFA FF015E2C
	v_mul_f32_dpp v95, v44, v95 row_newbcast:15 row_mask:0xf bank_mask:0xf// 000000004398: 0ABEBEFA FF015F2C
	s_waitcnt vmcnt(12)                                        // 0000000043A0: BF8C0F7C
	buffer_load_dwordx4 a[0:3], v36, s[12:15], 0 offen         // 0000000043A4: E05C1000 80830024
	v_mul_f32_e32 v46, v128, v128                              // 0000000043AC: 0A5D0180
	v_mul_f32_e32 v47, v129, v129                              // 0000000043B0: 0A5F0381
	v_mul_f32_e32 v48, v130, v130                              // 0000000043B4: 0A610582
	v_mul_f32_e32 v49, v131, v131                              // 0000000043B8: 0A630783
	v_fma_f32 v46, v46, s77, v1                                // 0000000043BC: D1CB002E 04049B2E
	v_fma_f32 v47, v47, s77, v1                                // 0000000043C4: D1CB002F 04049B2F
	v_fma_f32 v48, v48, s77, v1                                // 0000000043CC: D1CB0030 04049B30
	v_fma_f32 v49, v49, s77, v1                                // 0000000043D4: D1CB0031 04049B31
	v_mul_f32_e32 v46, v46, v128                               // 0000000043DC: 0A5D012E
	v_mul_f32_e32 v47, v47, v129                               // 0000000043E0: 0A5F032F
	v_mul_f32_e32 v48, v48, v130                               // 0000000043E4: 0A610530
	v_mul_f32_e32 v49, v49, v131                               // 0000000043E8: 0A630731
	v_mul_f32_e64 v46, v46, s6                                 // 0000000043EC: D105002E 00000D2E
	v_mul_f32_e64 v47, v47, s6                                 // 0000000043F4: D105002F 00000D2F
	v_mul_f32_e64 v48, v48, s6                                 // 0000000043FC: D1050030 00000D30
	v_mul_f32_e64 v49, v49, s6                                 // 000000004404: D1050031 00000D31
	v_exp_f32_e32 v46, v46                                     // 00000000440C: 7E5C412E
	v_exp_f32_e32 v47, v47                                     // 000000004410: 7E5E412F
	v_exp_f32_e32 v48, v48                                     // 000000004414: 7E604130
	v_exp_f32_e32 v49, v49                                     // 000000004418: 7E624131
	buffer_load_dwordx4 a[4:7], v37, s[12:15], 0 offen         // 00000000441C: E05C1000 80830425
	v_add_f32_e64 v46, v46, 1.0                                // 000000004424: D101002E 0001E52E
	v_add_f32_e64 v47, v47, 1.0                                // 00000000442C: D101002F 0001E52F
	v_add_f32_e64 v48, v48, 1.0                                // 000000004434: D1010030 0001E530
	v_add_f32_e64 v49, v49, 1.0                                // 00000000443C: D1010031 0001E531
	v_rcp_f32_e32 v46, v46                                     // 000000004444: 7E5C452E
	v_rcp_f32_e32 v47, v47                                     // 000000004448: 7E5E452F
	v_rcp_f32_e32 v48, v48                                     // 00000000444C: 7E604530
	v_rcp_f32_e32 v49, v49                                     // 000000004450: 7E624531
	v_mul_f32_e32 v128, v128, v46                              // 000000004454: 0B005D80
	v_mul_f32_e32 v129, v129, v47                              // 000000004458: 0B025F81
	v_mul_f32_e32 v130, v130, v48                              // 00000000445C: 0B046182
	v_mul_f32_e32 v131, v131, v49                              // 000000004460: 0B066383
	v_mul_f32_e32 v128, v128, v64                              // 000000004464: 0B008180
	v_mul_f32_e32 v129, v129, v65                              // 000000004468: 0B028381
	v_mul_f32_e32 v130, v130, v66                              // 00000000446C: 0B048582
	v_mul_f32_e32 v131, v131, v67                              // 000000004470: 0B068783
	buffer_load_dwordx4 a[8:11], v38, s[12:15], 0 offen        // 000000004474: E05C1000 80830826
	v_mul_f32_e32 v46, v132, v132                              // 00000000447C: 0A5D0984
	v_mul_f32_e32 v47, v133, v133                              // 000000004480: 0A5F0B85
	v_mul_f32_e32 v48, v134, v134                              // 000000004484: 0A610D86
	v_mul_f32_e32 v49, v135, v135                              // 000000004488: 0A630F87
	v_fma_f32 v46, v46, s77, v1                                // 00000000448C: D1CB002E 04049B2E
	v_fma_f32 v47, v47, s77, v1                                // 000000004494: D1CB002F 04049B2F
	v_fma_f32 v48, v48, s77, v1                                // 00000000449C: D1CB0030 04049B30
	v_fma_f32 v49, v49, s77, v1                                // 0000000044A4: D1CB0031 04049B31
	v_mul_f32_e32 v46, v46, v132                               // 0000000044AC: 0A5D092E
	v_mul_f32_e32 v47, v47, v133                               // 0000000044B0: 0A5F0B2F
	v_mul_f32_e32 v48, v48, v134                               // 0000000044B4: 0A610D30
	v_mul_f32_e32 v49, v49, v135                               // 0000000044B8: 0A630F31
	v_mul_f32_e64 v46, v46, s6                                 // 0000000044BC: D105002E 00000D2E
	v_mul_f32_e64 v47, v47, s6                                 // 0000000044C4: D105002F 00000D2F
	v_mul_f32_e64 v48, v48, s6                                 // 0000000044CC: D1050030 00000D30
	v_mul_f32_e64 v49, v49, s6                                 // 0000000044D4: D1050031 00000D31
	v_exp_f32_e32 v46, v46                                     // 0000000044DC: 7E5C412E
	v_exp_f32_e32 v47, v47                                     // 0000000044E0: 7E5E412F
	v_exp_f32_e32 v48, v48                                     // 0000000044E4: 7E604130
	v_exp_f32_e32 v49, v49                                     // 0000000044E8: 7E624131
	buffer_load_dwordx4 a[12:15], v39, s[12:15], 0 offen       // 0000000044EC: E05C1000 80830C27
	s_add_u32 s12, s78, s12                                    // 0000000044F4: 800C0C4E
	s_addc_u32 s13, 0, s13                                     // 0000000044F8: 820D0D80
	v_add_f32_e64 v46, v46, 1.0                                // 0000000044FC: D101002E 0001E52E
	v_add_f32_e64 v47, v47, 1.0                                // 000000004504: D101002F 0001E52F
	v_add_f32_e64 v48, v48, 1.0                                // 00000000450C: D1010030 0001E530
	v_add_f32_e64 v49, v49, 1.0                                // 000000004514: D1010031 0001E531
	v_rcp_f32_e32 v46, v46                                     // 00000000451C: 7E5C452E
	v_rcp_f32_e32 v47, v47                                     // 000000004520: 7E5E452F
	v_rcp_f32_e32 v48, v48                                     // 000000004524: 7E604530
	v_rcp_f32_e32 v49, v49                                     // 000000004528: 7E624531
	v_mul_f32_e32 v132, v132, v46                              // 00000000452C: 0B085D84
	v_mul_f32_e32 v133, v133, v47                              // 000000004530: 0B0A5F85
	v_mul_f32_e32 v134, v134, v48                              // 000000004534: 0B0C6186
	v_mul_f32_e32 v135, v135, v49                              // 000000004538: 0B0E6387
	v_mul_f32_e32 v132, v132, v68                              // 00000000453C: 0B088984
	v_mul_f32_e32 v133, v133, v69                              // 000000004540: 0B0A8B85
	v_mul_f32_e32 v134, v134, v70                              // 000000004544: 0B0C8D86
	v_mul_f32_e32 v135, v135, v71                              // 000000004548: 0B0E8F87
	s_waitcnt vmcnt(12)                                        // 00000000454C: BF8C0F7C
	buffer_load_dwordx4 a[16:19], v36, s[12:15], 0 offen       // 000000004550: E05C1000 80831024
	v_mul_f32_e32 v46, v136, v136                              // 000000004558: 0A5D1188
	v_mul_f32_e32 v47, v137, v137                              // 00000000455C: 0A5F1389
	v_mul_f32_e32 v48, v138, v138                              // 000000004560: 0A61158A
	v_mul_f32_e32 v49, v139, v139                              // 000000004564: 0A63178B
	v_fma_f32 v46, v46, s77, v1                                // 000000004568: D1CB002E 04049B2E
	v_fma_f32 v47, v47, s77, v1                                // 000000004570: D1CB002F 04049B2F
	v_fma_f32 v48, v48, s77, v1                                // 000000004578: D1CB0030 04049B30
	v_fma_f32 v49, v49, s77, v1                                // 000000004580: D1CB0031 04049B31
	v_mul_f32_e32 v46, v46, v136                               // 000000004588: 0A5D112E
	v_mul_f32_e32 v47, v47, v137                               // 00000000458C: 0A5F132F
	v_mul_f32_e32 v48, v48, v138                               // 000000004590: 0A611530
	v_mul_f32_e32 v49, v49, v139                               // 000000004594: 0A631731
	v_mul_f32_e64 v46, v46, s6                                 // 000000004598: D105002E 00000D2E
	v_mul_f32_e64 v47, v47, s6                                 // 0000000045A0: D105002F 00000D2F
	v_mul_f32_e64 v48, v48, s6                                 // 0000000045A8: D1050030 00000D30
	v_mul_f32_e64 v49, v49, s6                                 // 0000000045B0: D1050031 00000D31
	v_exp_f32_e32 v46, v46                                     // 0000000045B8: 7E5C412E
	v_exp_f32_e32 v47, v47                                     // 0000000045BC: 7E5E412F
	v_exp_f32_e32 v48, v48                                     // 0000000045C0: 7E604130
	v_exp_f32_e32 v49, v49                                     // 0000000045C4: 7E624131
	buffer_load_dwordx4 a[20:23], v37, s[12:15], 0 offen       // 0000000045C8: E05C1000 80831425
	v_add_f32_e64 v46, v46, 1.0                                // 0000000045D0: D101002E 0001E52E
	v_add_f32_e64 v47, v47, 1.0                                // 0000000045D8: D101002F 0001E52F
	v_add_f32_e64 v48, v48, 1.0                                // 0000000045E0: D1010030 0001E530
	v_add_f32_e64 v49, v49, 1.0                                // 0000000045E8: D1010031 0001E531
	v_rcp_f32_e32 v46, v46                                     // 0000000045F0: 7E5C452E
	v_rcp_f32_e32 v47, v47                                     // 0000000045F4: 7E5E452F
	v_rcp_f32_e32 v48, v48                                     // 0000000045F8: 7E604530
	v_rcp_f32_e32 v49, v49                                     // 0000000045FC: 7E624531
	v_mul_f32_e32 v136, v136, v46                              // 000000004600: 0B105D88
	v_mul_f32_e32 v137, v137, v47                              // 000000004604: 0B125F89
	v_mul_f32_e32 v138, v138, v48                              // 000000004608: 0B14618A
	v_mul_f32_e32 v139, v139, v49                              // 00000000460C: 0B16638B
	v_mul_f32_e32 v136, v136, v72                              // 000000004610: 0B109188
	v_mul_f32_e32 v137, v137, v73                              // 000000004614: 0B129389
	v_mul_f32_e32 v138, v138, v74                              // 000000004618: 0B14958A
	v_mul_f32_e32 v139, v139, v75                              // 00000000461C: 0B16978B
	buffer_load_dwordx4 a[24:27], v38, s[12:15], 0 offen       // 000000004620: E05C1000 80831826
	v_mul_f32_e32 v46, v140, v140                              // 000000004628: 0A5D198C
	v_mul_f32_e32 v47, v141, v141                              // 00000000462C: 0A5F1B8D
	v_mul_f32_e32 v48, v142, v142                              // 000000004630: 0A611D8E
	v_mul_f32_e32 v49, v143, v143                              // 000000004634: 0A631F8F
	v_fma_f32 v46, v46, s77, v1                                // 000000004638: D1CB002E 04049B2E
	v_fma_f32 v47, v47, s77, v1                                // 000000004640: D1CB002F 04049B2F
	v_fma_f32 v48, v48, s77, v1                                // 000000004648: D1CB0030 04049B30
	v_fma_f32 v49, v49, s77, v1                                // 000000004650: D1CB0031 04049B31
	v_mul_f32_e32 v46, v46, v140                               // 000000004658: 0A5D192E
	v_mul_f32_e32 v47, v47, v141                               // 00000000465C: 0A5F1B2F
	v_mul_f32_e32 v48, v48, v142                               // 000000004660: 0A611D30
	v_mul_f32_e32 v49, v49, v143                               // 000000004664: 0A631F31
	v_mul_f32_e64 v46, v46, s6                                 // 000000004668: D105002E 00000D2E
	v_mul_f32_e64 v47, v47, s6                                 // 000000004670: D105002F 00000D2F
	v_mul_f32_e64 v48, v48, s6                                 // 000000004678: D1050030 00000D30
	v_mul_f32_e64 v49, v49, s6                                 // 000000004680: D1050031 00000D31
	v_exp_f32_e32 v46, v46                                     // 000000004688: 7E5C412E
	v_exp_f32_e32 v47, v47                                     // 00000000468C: 7E5E412F
	v_exp_f32_e32 v48, v48                                     // 000000004690: 7E604130
	v_exp_f32_e32 v49, v49                                     // 000000004694: 7E624131
	buffer_load_dwordx4 a[28:31], v39, s[12:15], 0 offen       // 000000004698: E05C1000 80831C27
	s_add_u32 s12, s78, s12                                    // 0000000046A0: 800C0C4E
	s_addc_u32 s13, 0, s13                                     // 0000000046A4: 820D0D80
	v_add_f32_e64 v46, v46, 1.0                                // 0000000046A8: D101002E 0001E52E
	v_add_f32_e64 v47, v47, 1.0                                // 0000000046B0: D101002F 0001E52F
	v_add_f32_e64 v48, v48, 1.0                                // 0000000046B8: D1010030 0001E530
	v_add_f32_e64 v49, v49, 1.0                                // 0000000046C0: D1010031 0001E531
	v_rcp_f32_e32 v46, v46                                     // 0000000046C8: 7E5C452E
	v_rcp_f32_e32 v47, v47                                     // 0000000046CC: 7E5E452F
	v_rcp_f32_e32 v48, v48                                     // 0000000046D0: 7E604530
	v_rcp_f32_e32 v49, v49                                     // 0000000046D4: 7E624531
	v_mul_f32_e32 v140, v140, v46                              // 0000000046D8: 0B185D8C
	v_mul_f32_e32 v141, v141, v47                              // 0000000046DC: 0B1A5F8D
	v_mul_f32_e32 v142, v142, v48                              // 0000000046E0: 0B1C618E
	v_mul_f32_e32 v143, v143, v49                              // 0000000046E4: 0B1E638F
	v_mul_f32_e32 v140, v140, v76                              // 0000000046E8: 0B18998C
	v_mul_f32_e32 v141, v141, v77                              // 0000000046EC: 0B1A9B8D
	v_mul_f32_e32 v142, v142, v78                              // 0000000046F0: 0B1C9D8E
	v_mul_f32_e32 v143, v143, v79                              // 0000000046F4: 0B1E9F8F
	s_waitcnt vmcnt(12)                                        // 0000000046F8: BF8C0F7C
	buffer_load_dwordx4 a[32:35], v36, s[12:15], 0 offen       // 0000000046FC: E05C1000 80832024
	v_mul_f32_e32 v46, v144, v144                              // 000000004704: 0A5D2190
	v_mul_f32_e32 v47, v145, v145                              // 000000004708: 0A5F2391
	v_mul_f32_e32 v48, v146, v146                              // 00000000470C: 0A612592
	v_mul_f32_e32 v49, v147, v147                              // 000000004710: 0A632793
	v_fma_f32 v46, v46, s77, v1                                // 000000004714: D1CB002E 04049B2E
	v_fma_f32 v47, v47, s77, v1                                // 00000000471C: D1CB002F 04049B2F
	v_fma_f32 v48, v48, s77, v1                                // 000000004724: D1CB0030 04049B30
	v_fma_f32 v49, v49, s77, v1                                // 00000000472C: D1CB0031 04049B31
	v_mul_f32_e32 v46, v46, v144                               // 000000004734: 0A5D212E
	v_mul_f32_e32 v47, v47, v145                               // 000000004738: 0A5F232F
	v_mul_f32_e32 v48, v48, v146                               // 00000000473C: 0A612530
	v_mul_f32_e32 v49, v49, v147                               // 000000004740: 0A632731
	v_mul_f32_e64 v46, v46, s6                                 // 000000004744: D105002E 00000D2E
	v_mul_f32_e64 v47, v47, s6                                 // 00000000474C: D105002F 00000D2F
	v_mul_f32_e64 v48, v48, s6                                 // 000000004754: D1050030 00000D30
	v_mul_f32_e64 v49, v49, s6                                 // 00000000475C: D1050031 00000D31
	v_exp_f32_e32 v46, v46                                     // 000000004764: 7E5C412E
	v_exp_f32_e32 v47, v47                                     // 000000004768: 7E5E412F
	v_exp_f32_e32 v48, v48                                     // 00000000476C: 7E604130
	v_exp_f32_e32 v49, v49                                     // 000000004770: 7E624131
	buffer_load_dwordx4 a[36:39], v37, s[12:15], 0 offen       // 000000004774: E05C1000 80832425
	v_add_f32_e64 v46, v46, 1.0                                // 00000000477C: D101002E 0001E52E
	v_add_f32_e64 v47, v47, 1.0                                // 000000004784: D101002F 0001E52F
	v_add_f32_e64 v48, v48, 1.0                                // 00000000478C: D1010030 0001E530
	v_add_f32_e64 v49, v49, 1.0                                // 000000004794: D1010031 0001E531
	v_rcp_f32_e32 v46, v46                                     // 00000000479C: 7E5C452E
	v_rcp_f32_e32 v47, v47                                     // 0000000047A0: 7E5E452F
	v_rcp_f32_e32 v48, v48                                     // 0000000047A4: 7E604530
	v_rcp_f32_e32 v49, v49                                     // 0000000047A8: 7E624531
	v_mul_f32_e32 v144, v144, v46                              // 0000000047AC: 0B205D90
	v_mul_f32_e32 v145, v145, v47                              // 0000000047B0: 0B225F91
	v_mul_f32_e32 v146, v146, v48                              // 0000000047B4: 0B246192
	v_mul_f32_e32 v147, v147, v49                              // 0000000047B8: 0B266393
	v_mul_f32_e32 v144, v144, v80                              // 0000000047BC: 0B20A190
	v_mul_f32_e32 v145, v145, v81                              // 0000000047C0: 0B22A391
	v_mul_f32_e32 v146, v146, v82                              // 0000000047C4: 0B24A592
	v_mul_f32_e32 v147, v147, v83                              // 0000000047C8: 0B26A793
	buffer_load_dwordx4 a[40:43], v38, s[12:15], 0 offen       // 0000000047CC: E05C1000 80832826
	v_mul_f32_e32 v46, v148, v148                              // 0000000047D4: 0A5D2994
	v_mul_f32_e32 v47, v149, v149                              // 0000000047D8: 0A5F2B95
	v_mul_f32_e32 v48, v150, v150                              // 0000000047DC: 0A612D96
	v_mul_f32_e32 v49, v151, v151                              // 0000000047E0: 0A632F97
	v_fma_f32 v46, v46, s77, v1                                // 0000000047E4: D1CB002E 04049B2E
	v_fma_f32 v47, v47, s77, v1                                // 0000000047EC: D1CB002F 04049B2F
	v_fma_f32 v48, v48, s77, v1                                // 0000000047F4: D1CB0030 04049B30
	v_fma_f32 v49, v49, s77, v1                                // 0000000047FC: D1CB0031 04049B31
	v_mul_f32_e32 v46, v46, v148                               // 000000004804: 0A5D292E
	v_mul_f32_e32 v47, v47, v149                               // 000000004808: 0A5F2B2F
	v_mul_f32_e32 v48, v48, v150                               // 00000000480C: 0A612D30
	v_mul_f32_e32 v49, v49, v151                               // 000000004810: 0A632F31
	v_mul_f32_e64 v46, v46, s6                                 // 000000004814: D105002E 00000D2E
	v_mul_f32_e64 v47, v47, s6                                 // 00000000481C: D105002F 00000D2F
	v_mul_f32_e64 v48, v48, s6                                 // 000000004824: D1050030 00000D30
	v_mul_f32_e64 v49, v49, s6                                 // 00000000482C: D1050031 00000D31
	v_exp_f32_e32 v46, v46                                     // 000000004834: 7E5C412E
	v_exp_f32_e32 v47, v47                                     // 000000004838: 7E5E412F
	v_exp_f32_e32 v48, v48                                     // 00000000483C: 7E604130
	v_exp_f32_e32 v49, v49                                     // 000000004840: 7E624131
	buffer_load_dwordx4 a[44:47], v39, s[12:15], 0 offen       // 000000004844: E05C1000 80832C27
	s_add_u32 s12, s78, s12                                    // 00000000484C: 800C0C4E
	s_addc_u32 s13, 0, s13                                     // 000000004850: 820D0D80
	v_add_f32_e64 v46, v46, 1.0                                // 000000004854: D101002E 0001E52E
	v_add_f32_e64 v47, v47, 1.0                                // 00000000485C: D101002F 0001E52F
	v_add_f32_e64 v48, v48, 1.0                                // 000000004864: D1010030 0001E530
	v_add_f32_e64 v49, v49, 1.0                                // 00000000486C: D1010031 0001E531
	v_rcp_f32_e32 v46, v46                                     // 000000004874: 7E5C452E
	v_rcp_f32_e32 v47, v47                                     // 000000004878: 7E5E452F
	v_rcp_f32_e32 v48, v48                                     // 00000000487C: 7E604530
	v_rcp_f32_e32 v49, v49                                     // 000000004880: 7E624531
	v_mul_f32_e32 v148, v148, v46                              // 000000004884: 0B285D94
	v_mul_f32_e32 v149, v149, v47                              // 000000004888: 0B2A5F95
	v_mul_f32_e32 v150, v150, v48                              // 00000000488C: 0B2C6196
	v_mul_f32_e32 v151, v151, v49                              // 000000004890: 0B2E6397
	v_mul_f32_e32 v148, v148, v84                              // 000000004894: 0B28A994
	v_mul_f32_e32 v149, v149, v85                              // 000000004898: 0B2AAB95
	v_mul_f32_e32 v150, v150, v86                              // 00000000489C: 0B2CAD96
	v_mul_f32_e32 v151, v151, v87                              // 0000000048A0: 0B2EAF97
	s_waitcnt vmcnt(12)                                        // 0000000048A4: BF8C0F7C
	buffer_load_dwordx4 a[48:51], v36, s[12:15], 0 offen       // 0000000048A8: E05C1000 80833024
	v_mul_f32_e32 v46, v152, v152                              // 0000000048B0: 0A5D3198
	v_mul_f32_e32 v47, v153, v153                              // 0000000048B4: 0A5F3399
	v_mul_f32_e32 v48, v154, v154                              // 0000000048B8: 0A61359A
	v_mul_f32_e32 v49, v155, v155                              // 0000000048BC: 0A63379B
	v_fma_f32 v46, v46, s77, v1                                // 0000000048C0: D1CB002E 04049B2E
	v_fma_f32 v47, v47, s77, v1                                // 0000000048C8: D1CB002F 04049B2F
	v_fma_f32 v48, v48, s77, v1                                // 0000000048D0: D1CB0030 04049B30
	v_fma_f32 v49, v49, s77, v1                                // 0000000048D8: D1CB0031 04049B31
	v_mul_f32_e32 v46, v46, v152                               // 0000000048E0: 0A5D312E
	v_mul_f32_e32 v47, v47, v153                               // 0000000048E4: 0A5F332F
	v_mul_f32_e32 v48, v48, v154                               // 0000000048E8: 0A613530
	v_mul_f32_e32 v49, v49, v155                               // 0000000048EC: 0A633731
	v_mul_f32_e64 v46, v46, s6                                 // 0000000048F0: D105002E 00000D2E
	v_mul_f32_e64 v47, v47, s6                                 // 0000000048F8: D105002F 00000D2F
	v_mul_f32_e64 v48, v48, s6                                 // 000000004900: D1050030 00000D30
	v_mul_f32_e64 v49, v49, s6                                 // 000000004908: D1050031 00000D31
	v_exp_f32_e32 v46, v46                                     // 000000004910: 7E5C412E
	v_exp_f32_e32 v47, v47                                     // 000000004914: 7E5E412F
	v_exp_f32_e32 v48, v48                                     // 000000004918: 7E604130
	v_exp_f32_e32 v49, v49                                     // 00000000491C: 7E624131
	buffer_load_dwordx4 a[52:55], v37, s[12:15], 0 offen       // 000000004920: E05C1000 80833425
	v_add_f32_e64 v46, v46, 1.0                                // 000000004928: D101002E 0001E52E
	v_add_f32_e64 v47, v47, 1.0                                // 000000004930: D101002F 0001E52F
	v_add_f32_e64 v48, v48, 1.0                                // 000000004938: D1010030 0001E530
	v_add_f32_e64 v49, v49, 1.0                                // 000000004940: D1010031 0001E531
	v_rcp_f32_e32 v46, v46                                     // 000000004948: 7E5C452E
	v_rcp_f32_e32 v47, v47                                     // 00000000494C: 7E5E452F
	v_rcp_f32_e32 v48, v48                                     // 000000004950: 7E604530
	v_rcp_f32_e32 v49, v49                                     // 000000004954: 7E624531
	v_mul_f32_e32 v152, v152, v46                              // 000000004958: 0B305D98
	v_mul_f32_e32 v153, v153, v47                              // 00000000495C: 0B325F99
	v_mul_f32_e32 v154, v154, v48                              // 000000004960: 0B34619A
	v_mul_f32_e32 v155, v155, v49                              // 000000004964: 0B36639B
	v_mul_f32_e32 v152, v152, v88                              // 000000004968: 0B30B198
	v_mul_f32_e32 v153, v153, v89                              // 00000000496C: 0B32B399
	v_mul_f32_e32 v154, v154, v90                              // 000000004970: 0B34B59A
	v_mul_f32_e32 v155, v155, v91                              // 000000004974: 0B36B79B
	buffer_load_dwordx4 a[56:59], v38, s[12:15], 0 offen       // 000000004978: E05C1000 80833826
	v_mul_f32_e32 v46, v156, v156                              // 000000004980: 0A5D399C
	v_mul_f32_e32 v47, v157, v157                              // 000000004984: 0A5F3B9D
	v_mul_f32_e32 v48, v158, v158                              // 000000004988: 0A613D9E
	v_mul_f32_e32 v49, v159, v159                              // 00000000498C: 0A633F9F
	v_fma_f32 v46, v46, s77, v1                                // 000000004990: D1CB002E 04049B2E
	v_fma_f32 v47, v47, s77, v1                                // 000000004998: D1CB002F 04049B2F
	v_fma_f32 v48, v48, s77, v1                                // 0000000049A0: D1CB0030 04049B30
	v_fma_f32 v49, v49, s77, v1                                // 0000000049A8: D1CB0031 04049B31
	v_mul_f32_e32 v46, v46, v156                               // 0000000049B0: 0A5D392E
	v_mul_f32_e32 v47, v47, v157                               // 0000000049B4: 0A5F3B2F
	v_mul_f32_e32 v48, v48, v158                               // 0000000049B8: 0A613D30
	v_mul_f32_e32 v49, v49, v159                               // 0000000049BC: 0A633F31
	v_mul_f32_e64 v46, v46, s6                                 // 0000000049C0: D105002E 00000D2E
	v_mul_f32_e64 v47, v47, s6                                 // 0000000049C8: D105002F 00000D2F
	v_mul_f32_e64 v48, v48, s6                                 // 0000000049D0: D1050030 00000D30
	v_mul_f32_e64 v49, v49, s6                                 // 0000000049D8: D1050031 00000D31
	v_exp_f32_e32 v46, v46                                     // 0000000049E0: 7E5C412E
	v_exp_f32_e32 v47, v47                                     // 0000000049E4: 7E5E412F
	v_exp_f32_e32 v48, v48                                     // 0000000049E8: 7E604130
	v_exp_f32_e32 v49, v49                                     // 0000000049EC: 7E624131
	buffer_load_dwordx4 a[60:63], v39, s[12:15], 0 offen       // 0000000049F0: E05C1000 80833C27
	v_add_f32_e64 v46, v46, 1.0                                // 0000000049F8: D101002E 0001E52E
	v_add_f32_e64 v47, v47, 1.0                                // 000000004A00: D101002F 0001E52F
	v_add_f32_e64 v48, v48, 1.0                                // 000000004A08: D1010030 0001E530
	v_add_f32_e64 v49, v49, 1.0                                // 000000004A10: D1010031 0001E531
	v_rcp_f32_e32 v46, v46                                     // 000000004A18: 7E5C452E
	v_rcp_f32_e32 v47, v47                                     // 000000004A1C: 7E5E452F
	v_rcp_f32_e32 v48, v48                                     // 000000004A20: 7E604530
	v_rcp_f32_e32 v49, v49                                     // 000000004A24: 7E624531
	v_mul_f32_e32 v156, v156, v46                              // 000000004A28: 0B385D9C
	v_mul_f32_e32 v157, v157, v47                              // 000000004A2C: 0B3A5F9D
	v_mul_f32_e32 v158, v158, v48                              // 000000004A30: 0B3C619E
	v_mul_f32_e32 v159, v159, v49                              // 000000004A34: 0B3E639F
	v_mul_f32_e32 v156, v156, v92                              // 000000004A38: 0B38B99C
	v_mul_f32_e32 v157, v157, v93                              // 000000004A3C: 0B3ABB9D
	v_mul_f32_e32 v158, v158, v94                              // 000000004A40: 0B3CBD9E
	v_mul_f32_e32 v159, v159, v95                              // 000000004A44: 0B3EBF9F
	v_lshlrev_b32_e32 v46, 2, v0                               // 000000004A48: 245C0082
	s_mul_i32 s60, s82, s71                                    // 000000004A4C: 923C4752
	v_add_u32_e64 v80, v46, s60                                // 000000004A50: D1340050 0000792E
	v_mov_b32_e32 v81, 0                                       // 000000004A58: 7EA20280
	s_mul_i32 s60, s83, s71                                    // 000000004A5C: 923C4753
	v_add_u32_e64 v82, v46, s60                                // 000000004A60: D1340052 0000792E
	v_mov_b32_e32 v83, 0                                       // 000000004A68: 7EA60280
	s_mul_i32 s60, s84, s71                                    // 000000004A6C: 923C4754
	v_add_u32_e64 v84, v46, s60                                // 000000004A70: D1340054 0000792E
	v_mov_b32_e32 v85, 0                                       // 000000004A78: 7EAA0280
	s_mul_i32 s60, s85, s71                                    // 000000004A7C: 923C4755
	v_add_u32_e64 v86, v46, s60                                // 000000004A80: D1340056 0000792E
	v_mov_b32_e32 v87, 0                                       // 000000004A88: 7EAE0280
	s_mul_i32 s60, s86, s71                                    // 000000004A8C: 923C4756
	v_add_u32_e64 v88, v46, s60                                // 000000004A90: D1340058 0000792E
	v_mov_b32_e32 v89, 0                                       // 000000004A98: 7EB20280
	s_mul_i32 s60, s87, s71                                    // 000000004A9C: 923C4757
	v_add_u32_e64 v90, v46, s60                                // 000000004AA0: D134005A 0000792E
	v_mov_b32_e32 v91, 0                                       // 000000004AA8: 7EB60280
	s_mul_i32 s60, s88, s71                                    // 000000004AAC: 923C4758
	v_add_u32_e64 v92, v46, s60                                // 000000004AB0: D134005C 0000792E
	v_mov_b32_e32 v93, 0                                       // 000000004AB8: 7EBA0280
	s_mul_i32 s60, s89, s71                                    // 000000004ABC: 923C4759
	v_add_u32_e64 v94, v46, s60                                // 000000004AC0: D134005E 0000792E
	v_mov_b32_e32 v95, 0                                       // 000000004AC8: 7EBE0280
	buffer_load_dword v11, v5, s[16:19], 0 offen               // 000000004ACC: E0501000 80040B05
	v_mov_b32_e32 v20, 0x358637bd                              // 000000004AD4: 7E2802FF 358637BD
	v_mov_b32_e32 v21, 0x358637bd                              // 000000004ADC: 7E2A02FF 358637BD
	v_max3_f32 v20, |v128|, |v129|, v20                        // 000000004AE4: D1D30314 04530380
	v_max3_f32 v20, |v130|, |v131|, v20                        // 000000004AEC: D1D30314 04530782
	v_max3_f32 v21, |v132|, |v133|, v21                        // 000000004AF4: D1D30315 04570B84
	v_max3_f32 v21, |v134|, |v135|, v21                        // 000000004AFC: D1D30315 04570F86
	v_max3_f32 v20, |v136|, |v137|, v20                        // 000000004B04: D1D30314 04531388
	v_max3_f32 v20, |v138|, |v139|, v20                        // 000000004B0C: D1D30314 0453178A
	v_max3_f32 v21, |v140|, |v141|, v21                        // 000000004B14: D1D30315 04571B8C
	v_max3_f32 v21, |v142|, |v143|, v21                        // 000000004B1C: D1D30315 04571F8E
	v_max3_f32 v20, |v144|, |v145|, v20                        // 000000004B24: D1D30314 04532390
	v_max3_f32 v20, |v146|, |v147|, v20                        // 000000004B2C: D1D30314 04532792
	v_max3_f32 v21, |v148|, |v149|, v21                        // 000000004B34: D1D30315 04572B94
	v_max3_f32 v21, |v150|, |v151|, v21                        // 000000004B3C: D1D30315 04572F96
	v_max3_f32 v20, |v152|, |v153|, v20                        // 000000004B44: D1D30314 04533398
	v_max3_f32 v20, |v154|, |v155|, v20                        // 000000004B4C: D1D30314 0453379A
	v_max3_f32 v21, |v156|, |v157|, v21                        // 000000004B54: D1D30315 04573B9C
	v_max3_f32 v21, |v158|, |v159|, v21                        // 000000004B5C: D1D30315 04573F9E
	v_lshlrev_b32_e32 v46, 3, v0                               // 000000004B64: 245C0083
	s_mul_i32 s60, 0x200, s7                                   // 000000004B68: 923C07FF 00000200
	v_add_u32_e32 v46, s60, v46                                // 000000004B70: 685C5C3C
	ds_write_b64 v46, v[20:21] offset:16640                    // 000000004B74: D89A4100 0000142E
	s_waitcnt lgkmcnt(0)                                       // 000000004B7C: BF8CC07F
	s_barrier                                                  // 000000004B80: BF8A0000
	v_and_b32_e32 v46, 15, v0                                  // 000000004B84: 265C008F
	v_lshlrev_b32_e32 v46, 3, v46                              // 000000004B88: 245C5C83
	ds_read_b64 v[96:97], v46 offset:16640                     // 000000004B8C: D8EC4100 6000002E
	ds_read_b64 v[98:99], v46 offset:16768                     // 000000004B94: D8EC4180 6200002E
	ds_read_b64 v[100:101], v46 offset:16896                   // 000000004B9C: D8EC4200 6400002E
	ds_read_b64 v[102:103], v46 offset:17024                   // 000000004BA4: D8EC4280 6600002E
	ds_read_b64 v[104:105], v46 offset:17152                   // 000000004BAC: D8EC4300 6800002E
	ds_read_b64 v[106:107], v46 offset:17280                   // 000000004BB4: D8EC4380 6A00002E
	ds_read_b64 v[108:109], v46 offset:17408                   // 000000004BBC: D8EC4400 6C00002E
	ds_read_b64 v[110:111], v46 offset:17536                   // 000000004BC4: D8EC4480 6E00002E
	ds_read_b64 v[112:113], v46 offset:17664                   // 000000004BCC: D8EC4500 7000002E
	ds_read_b64 v[114:115], v46 offset:17792                   // 000000004BD4: D8EC4580 7200002E
	ds_read_b64 v[116:117], v46 offset:17920                   // 000000004BDC: D8EC4600 7400002E
	ds_read_b64 v[118:119], v46 offset:18048                   // 000000004BE4: D8EC4680 7600002E
	ds_read_b64 v[120:121], v46 offset:18176                   // 000000004BEC: D8EC4700 7800002E
	ds_read_b64 v[122:123], v46 offset:18304                   // 000000004BF4: D8EC4780 7A00002E
	ds_read_b64 v[124:125], v46 offset:18432                   // 000000004BFC: D8EC4800 7C00002E
	ds_read_b64 v[126:127], v46 offset:18560                   // 000000004C04: D8EC4880 7E00002E
	s_waitcnt lgkmcnt(0)                                       // 000000004C0C: BF8CC07F
	v_max3_f32 v20, |v96|, |v98|, v20                          // 000000004C10: D1D30314 0452C560
	v_max3_f32 v21, |v97|, |v99|, v21                          // 000000004C18: D1D30315 0456C761
	v_max3_f32 v20, |v100|, |v102|, v20                        // 000000004C20: D1D30314 0452CD64
	v_max3_f32 v21, |v101|, |v103|, v21                        // 000000004C28: D1D30315 0456CF65
	v_max3_f32 v20, |v104|, |v106|, v20                        // 000000004C30: D1D30314 0452D568
	v_max3_f32 v21, |v105|, |v107|, v21                        // 000000004C38: D1D30315 0456D769
	v_max3_f32 v20, |v108|, |v110|, v20                        // 000000004C40: D1D30314 0452DD6C
	v_max3_f32 v21, |v109|, |v111|, v21                        // 000000004C48: D1D30315 0456DF6D
	v_max3_f32 v20, |v112|, |v114|, v20                        // 000000004C50: D1D30314 0452E570
	v_max3_f32 v21, |v113|, |v115|, v21                        // 000000004C58: D1D30315 0456E771
	v_max3_f32 v20, |v116|, |v118|, v20                        // 000000004C60: D1D30314 0452ED74
	v_max3_f32 v21, |v117|, |v119|, v21                        // 000000004C68: D1D30315 0456EF75
	v_max3_f32 v20, |v120|, |v122|, v20                        // 000000004C70: D1D30314 0452F578
	v_max3_f32 v21, |v121|, |v123|, v21                        // 000000004C78: D1D30315 0456F779
	v_max3_f32 v20, |v124|, |v126|, v20                        // 000000004C80: D1D30314 0452FD7C
	v_max3_f32 v21, |v125|, |v127|, v21                        // 000000004C88: D1D30315 0456FF7D
	v_rcp_f32_e32 v20, v20                                     // 000000004C90: 7E284514
	v_rcp_f32_e32 v21, v21                                     // 000000004C94: 7E2A4515
	v_mov_b32_e32 v46, 0x43700000                              // 000000004C98: 7E5C02FF 43700000
	v_mul_f32_e32 v20, v46, v20                                // 000000004CA0: 0A28292E
	v_mul_f32_e32 v21, v46, v21                                // 000000004CA4: 0A2A2B2E
	v_mul_f32_e32 v128, v20, v128                              // 000000004CA8: 0B010114
	v_mul_f32_e32 v129, v20, v129                              // 000000004CAC: 0B030314
	v_mul_f32_e32 v130, v20, v130                              // 000000004CB0: 0B050514
	v_mul_f32_e32 v131, v20, v131                              // 000000004CB4: 0B070714
	v_cvt_pk_fp8_f32 v128, v128, v129                          // 000000004CB8: D2A20080 00030380
	v_cvt_pk_fp8_f32 v128, v130, v131 op_sel:[0,0,1]           // 000000004CC0: D2A24080 00030782
	v_mul_f32_e32 v132, v21, v132                              // 000000004CC8: 0B090915
	v_mul_f32_e32 v133, v21, v133                              // 000000004CCC: 0B0B0B15
	v_mul_f32_e32 v134, v21, v134                              // 000000004CD0: 0B0D0D15
	v_mul_f32_e32 v135, v21, v135                              // 000000004CD4: 0B0F0F15
	v_cvt_pk_fp8_f32 v129, v132, v133                          // 000000004CD8: D2A20081 00030B84
	v_cvt_pk_fp8_f32 v129, v134, v135 op_sel:[0,0,1]           // 000000004CE0: D2A24081 00030F86
	v_mul_f32_e32 v136, v20, v136                              // 000000004CE8: 0B111114
	v_mul_f32_e32 v137, v20, v137                              // 000000004CEC: 0B131314
	v_mul_f32_e32 v138, v20, v138                              // 000000004CF0: 0B151514
	v_mul_f32_e32 v139, v20, v139                              // 000000004CF4: 0B171714
	v_cvt_pk_fp8_f32 v130, v136, v137                          // 000000004CF8: D2A20082 00031388
	v_cvt_pk_fp8_f32 v130, v138, v139 op_sel:[0,0,1]           // 000000004D00: D2A24082 0003178A
	v_mul_f32_e32 v140, v21, v140                              // 000000004D08: 0B191915
	v_mul_f32_e32 v141, v21, v141                              // 000000004D0C: 0B1B1B15
	v_mul_f32_e32 v142, v21, v142                              // 000000004D10: 0B1D1D15
	v_mul_f32_e32 v143, v21, v143                              // 000000004D14: 0B1F1F15
	v_cvt_pk_fp8_f32 v131, v140, v141                          // 000000004D18: D2A20083 00031B8C
	v_cvt_pk_fp8_f32 v131, v142, v143 op_sel:[0,0,1]           // 000000004D20: D2A24083 00031F8E
	v_mul_f32_e32 v144, v20, v144                              // 000000004D28: 0B212114
	v_mul_f32_e32 v145, v20, v145                              // 000000004D2C: 0B232314
	v_mul_f32_e32 v146, v20, v146                              // 000000004D30: 0B252514
	v_mul_f32_e32 v147, v20, v147                              // 000000004D34: 0B272714
	v_cvt_pk_fp8_f32 v132, v144, v145                          // 000000004D38: D2A20084 00032390
	v_cvt_pk_fp8_f32 v132, v146, v147 op_sel:[0,0,1]           // 000000004D40: D2A24084 00032792
	v_mul_f32_e32 v148, v21, v148                              // 000000004D48: 0B292915
	v_mul_f32_e32 v149, v21, v149                              // 000000004D4C: 0B2B2B15
	v_mul_f32_e32 v150, v21, v150                              // 000000004D50: 0B2D2D15
	v_mul_f32_e32 v151, v21, v151                              // 000000004D54: 0B2F2F15
	v_cvt_pk_fp8_f32 v133, v148, v149                          // 000000004D58: D2A20085 00032B94
	v_cvt_pk_fp8_f32 v133, v150, v151 op_sel:[0,0,1]           // 000000004D60: D2A24085 00032F96
	v_mul_f32_e32 v152, v20, v152                              // 000000004D68: 0B313114
	v_mul_f32_e32 v153, v20, v153                              // 000000004D6C: 0B333314
	v_mul_f32_e32 v154, v20, v154                              // 000000004D70: 0B353514
	v_mul_f32_e32 v155, v20, v155                              // 000000004D74: 0B373714
	v_cvt_pk_fp8_f32 v134, v152, v153                          // 000000004D78: D2A20086 00033398
	v_cvt_pk_fp8_f32 v134, v154, v155 op_sel:[0,0,1]           // 000000004D80: D2A24086 0003379A
	v_mul_f32_e32 v156, v21, v156                              // 000000004D88: 0B393915
	v_mul_f32_e32 v157, v21, v157                              // 000000004D8C: 0B3B3B15
	v_mul_f32_e32 v158, v21, v158                              // 000000004D90: 0B3D3D15
	v_mul_f32_e32 v159, v21, v159                              // 000000004D94: 0B3F3F15
	v_cvt_pk_fp8_f32 v135, v156, v157                          // 000000004D98: D2A20087 00033B9C
	v_cvt_pk_fp8_f32 v135, v158, v159 op_sel:[0,0,1]           // 000000004DA0: D2A24087 00033F9E
	v_rcp_f32_e32 v22, v20                                     // 000000004DA8: 7E2C4514
	v_rcp_f32_e32 v23, v21                                     // 000000004DAC: 7E2E4515
	v_lshrrev_b32_e32 v46, 5, v0                               // 000000004DB0: 205C0085
	v_lshlrev_b32_e32 v47, 5, v46                              // 000000004DB4: 245E5C85
	v_and_b32_e32 v46, 31, v0                                  // 000000004DB8: 265C009F
	v_lshrrev_b32_e32 v48, 4, v46                              // 000000004DBC: 20605C84
	v_add_u32_e32 v47, v48, v47                                // 000000004DC0: 685E5F30
	v_and_b32_e32 v46, 15, v0                                  // 000000004DC4: 265C008F
	v_lshlrev_b32_e32 v46, 1, v46                              // 000000004DC8: 245C5C81
	v_add_u32_e32 v47, v46, v47                                // 000000004DCC: 685E5F2E
	v_lshlrev_b32_e32 v46, 2, v47                              // 000000004DD0: 245C5E82
	s_mul_i32 s60, 0x100, s7                                   // 000000004DD4: 923C07FF 00000100
	v_add_u32_e64 v46, v46, s60                                // 000000004DDC: D134002E 0000792E
	ds_write_b32 v46, v128 offset:18688                        // 000000004DE4: D81A4900 0000802E
	ds_write_b32 v46, v129 offset:22784                        // 000000004DEC: D81A5900 0000812E
	ds_write_b32 v46, v130 offset:19712                        // 000000004DF4: D81A4D00 0000822E
	ds_write_b32 v46, v131 offset:23808                        // 000000004DFC: D81A5D00 0000832E
	ds_write_b32 v46, v132 offset:20736                        // 000000004E04: D81A5100 0000842E
	ds_write_b32 v46, v133 offset:24832                        // 000000004E0C: D81A6100 0000852E
	ds_write_b32 v46, v134 offset:21760                        // 000000004E14: D81A5500 0000862E
	ds_write_b32 v46, v135 offset:25856                        // 000000004E1C: D81A6500 0000872E
	s_waitcnt lgkmcnt(0)                                       // 000000004E24: BF8CC07F
	s_barrier                                                  // 000000004E28: BF8A0000
	v_lshrrev_b32_e32 v46, 4, v0                               // 000000004E2C: 205C0084
	v_lshlrev_b32_e32 v47, 6, v46                              // 000000004E30: 245E5C86
	v_and_b32_e32 v46, 15, v0                                  // 000000004E34: 265C008F
	v_lshlrev_b32_e32 v46, 1, v46                              // 000000004E38: 245C5C81
	v_add_u32_e32 v47, v46, v47                                // 000000004E3C: 685E5F2E
	v_lshlrev_b32_e32 v46, 2, v47                              // 000000004E40: 245C5E82
	ds_read_b64 v[128:129], v46 offset:18688                   // 000000004E44: D8EC4900 8000002E
	ds_read_b64 v[130:131], v46 offset:18816                   // 000000004E4C: D8EC4980 8200002E
	ds_read_b64 v[132:133], v46 offset:19712                   // 000000004E54: D8EC4D00 8400002E
	ds_read_b64 v[134:135], v46 offset:19840                   // 000000004E5C: D8EC4D80 8600002E
	ds_read_b64 v[136:137], v46 offset:20736                   // 000000004E64: D8EC5100 8800002E
	ds_read_b64 v[138:139], v46 offset:20864                   // 000000004E6C: D8EC5180 8A00002E
	ds_read_b64 v[140:141], v46 offset:21760                   // 000000004E74: D8EC5500 8C00002E
	ds_read_b64 v[142:143], v46 offset:21888                   // 000000004E7C: D8EC5580 8E00002E
	ds_read_b64 v[144:145], v46 offset:22784                   // 000000004E84: D8EC5900 9000002E
	ds_read_b64 v[146:147], v46 offset:22912                   // 000000004E8C: D8EC5980 9200002E
	ds_read_b64 v[148:149], v46 offset:23808                   // 000000004E94: D8EC5D00 9400002E
	ds_read_b64 v[150:151], v46 offset:23936                   // 000000004E9C: D8EC5D80 9600002E
	ds_read_b64 v[152:153], v46 offset:24832                   // 000000004EA4: D8EC6100 9800002E
	ds_read_b64 v[154:155], v46 offset:24960                   // 000000004EAC: D8EC6180 9A00002E
	ds_read_b64 v[156:157], v46 offset:25856                   // 000000004EB4: D8EC6500 9C00002E
	ds_read_b64 v[158:159], v46 offset:25984                   // 000000004EBC: D8EC6580 9E00002E
	s_add_u32 s12, s56, s12                                    // 000000004EC4: 800C0C38
	s_addc_u32 s13, 0, s13                                     // 000000004EC8: 820D0D80
	s_add_u32 s16, s79, s16                                    // 000000004ECC: 8010104F
	s_addc_u32 s17, 0, s17                                     // 000000004ED0: 82111180
	s_mov_b32 s80, 0                                           // 000000004ED4: BED00080
	s_waitcnt vmcnt(0) expcnt(0) lgkmcnt(0)                    // 000000004ED8: BF8C0000

0000000000004edc <label_08F7>:
	s_waitcnt vmcnt(29)                                        // 000000004EDC: BF8C4F7D
	s_barrier                                                  // 000000004EE0: BF8A0000
	v_mfma_f32_16x16x32_fp8_fp8 v[160:163], a[0:1], v[128:129], 0// 000000004EE4: D3F300A0 0A030100
	v_mfma_f32_16x16x32_fp8_fp8 v[160:163], a[2:3], v[130:131], v[160:163]// 000000004EEC: D3F300A0 0E830502
	buffer_load_dwordx4 a[64:67], v36, s[12:15], 0 offen       // 000000004EF4: E05C1000 80834024
	v_mfma_f32_16x16x32_fp8_fp8 v[164:167], a[0:1], v[144:145], 0// 000000004EFC: D3F300A4 0A032100
	v_mfma_f32_16x16x32_fp8_fp8 v[164:167], a[2:3], v[146:147], v[164:167]// 000000004F04: D3F300A4 0E932502
	v_mfma_f32_16x16x32_fp8_fp8 v[168:171], a[4:5], v[128:129], 0// 000000004F0C: D3F300A8 0A030104
	v_mfma_f32_16x16x32_fp8_fp8 v[168:171], a[6:7], v[130:131], v[168:171]// 000000004F14: D3F300A8 0EA30506
	buffer_load_dwordx4 a[68:71], v37, s[12:15], 0 offen       // 000000004F1C: E05C1000 80834425
	v_mfma_f32_16x16x32_fp8_fp8 v[172:175], a[4:5], v[144:145], 0// 000000004F24: D3F300AC 0A032104
	v_mfma_f32_16x16x32_fp8_fp8 v[172:175], a[6:7], v[146:147], v[172:175]// 000000004F2C: D3F300AC 0EB32506
	v_mfma_f32_16x16x32_fp8_fp8 v[176:179], a[8:9], v[128:129], 0// 000000004F34: D3F300B0 0A030108
	v_mfma_f32_16x16x32_fp8_fp8 v[176:179], a[10:11], v[130:131], v[176:179]// 000000004F3C: D3F300B0 0EC3050A
	buffer_load_dwordx4 a[72:75], v38, s[12:15], 0 offen       // 000000004F44: E05C1000 80834826
	v_mfma_f32_16x16x32_fp8_fp8 v[180:183], a[8:9], v[144:145], 0// 000000004F4C: D3F300B4 0A032108
	v_mfma_f32_16x16x32_fp8_fp8 v[180:183], a[10:11], v[146:147], v[180:183]// 000000004F54: D3F300B4 0ED3250A
	v_mfma_f32_16x16x32_fp8_fp8 v[184:187], a[12:13], v[128:129], 0// 000000004F5C: D3F300B8 0A03010C
	v_mfma_f32_16x16x32_fp8_fp8 v[184:187], a[14:15], v[130:131], v[184:187]// 000000004F64: D3F300B8 0EE3050E
	buffer_load_dwordx4 a[76:79], v39, s[12:15], 0 offen       // 000000004F6C: E05C1000 80834C27
	s_add_u32 s12, s78, s12                                    // 000000004F74: 800C0C4E
	s_addc_u32 s13, 0, s13                                     // 000000004F78: 820D0D80
	v_mfma_f32_16x16x32_fp8_fp8 v[188:191], a[12:13], v[144:145], 0// 000000004F7C: D3F300BC 0A03210C
	v_mfma_f32_16x16x32_fp8_fp8 v[188:191], a[14:15], v[146:147], v[188:191]// 000000004F84: D3F300BC 0EF3250E
	s_waitcnt vmcnt(29)                                        // 000000004F8C: BF8C4F7D
	v_mfma_f32_16x16x32_fp8_fp8 v[160:163], a[16:17], v[132:133], v[160:163]// 000000004F90: D3F300A0 0E830910
	v_mfma_f32_16x16x32_fp8_fp8 v[160:163], a[18:19], v[134:135], v[160:163]// 000000004F98: D3F300A0 0E830D12
	buffer_load_dwordx4 a[80:83], v36, s[12:15], 0 offen       // 000000004FA0: E05C1000 80835024
	v_mfma_f32_16x16x32_fp8_fp8 v[164:167], a[16:17], v[148:149], v[164:167]// 000000004FA8: D3F300A4 0E932910
	v_mfma_f32_16x16x32_fp8_fp8 v[164:167], a[18:19], v[150:151], v[164:167]// 000000004FB0: D3F300A4 0E932D12
	v_mfma_f32_16x16x32_fp8_fp8 v[168:171], a[20:21], v[132:133], v[168:171]// 000000004FB8: D3F300A8 0EA30914
	v_mfma_f32_16x16x32_fp8_fp8 v[168:171], a[22:23], v[134:135], v[168:171]// 000000004FC0: D3F300A8 0EA30D16
	buffer_load_dwordx4 a[84:87], v37, s[12:15], 0 offen       // 000000004FC8: E05C1000 80835425
	v_mfma_f32_16x16x32_fp8_fp8 v[172:175], a[20:21], v[148:149], v[172:175]// 000000004FD0: D3F300AC 0EB32914
	v_mfma_f32_16x16x32_fp8_fp8 v[172:175], a[22:23], v[150:151], v[172:175]// 000000004FD8: D3F300AC 0EB32D16
	v_mfma_f32_16x16x32_fp8_fp8 v[176:179], a[24:25], v[132:133], v[176:179]// 000000004FE0: D3F300B0 0EC30918
	v_mfma_f32_16x16x32_fp8_fp8 v[176:179], a[26:27], v[134:135], v[176:179]// 000000004FE8: D3F300B0 0EC30D1A
	buffer_load_dwordx4 a[88:91], v38, s[12:15], 0 offen       // 000000004FF0: E05C1000 80835826
	v_mfma_f32_16x16x32_fp8_fp8 v[180:183], a[24:25], v[148:149], v[180:183]// 000000004FF8: D3F300B4 0ED32918
	v_mfma_f32_16x16x32_fp8_fp8 v[180:183], a[26:27], v[150:151], v[180:183]// 000000005000: D3F300B4 0ED32D1A
	v_mfma_f32_16x16x32_fp8_fp8 v[184:187], a[28:29], v[132:133], v[184:187]// 000000005008: D3F300B8 0EE3091C
	v_mfma_f32_16x16x32_fp8_fp8 v[184:187], a[30:31], v[134:135], v[184:187]// 000000005010: D3F300B8 0EE30D1E
	buffer_load_dwordx4 a[92:95], v39, s[12:15], 0 offen       // 000000005018: E05C1000 80835C27
	s_add_u32 s12, s78, s12                                    // 000000005020: 800C0C4E
	s_addc_u32 s13, 0, s13                                     // 000000005024: 820D0D80
	v_mfma_f32_16x16x32_fp8_fp8 v[188:191], a[28:29], v[148:149], v[188:191]// 000000005028: D3F300BC 0EF3291C
	v_mfma_f32_16x16x32_fp8_fp8 v[188:191], a[30:31], v[150:151], v[188:191]// 000000005030: D3F300BC 0EF32D1E
	s_waitcnt vmcnt(29)                                        // 000000005038: BF8C4F7D
	v_mfma_f32_16x16x32_fp8_fp8 v[160:163], a[32:33], v[136:137], v[160:163]// 00000000503C: D3F300A0 0E831120
	v_mfma_f32_16x16x32_fp8_fp8 v[160:163], a[34:35], v[138:139], v[160:163]// 000000005044: D3F300A0 0E831522
	buffer_load_dwordx4 a[96:99], v36, s[12:15], 0 offen       // 00000000504C: E05C1000 80836024
	v_mfma_f32_16x16x32_fp8_fp8 v[164:167], a[32:33], v[152:153], v[164:167]// 000000005054: D3F300A4 0E933120
	v_mfma_f32_16x16x32_fp8_fp8 v[164:167], a[34:35], v[154:155], v[164:167]// 00000000505C: D3F300A4 0E933522
	v_mfma_f32_16x16x32_fp8_fp8 v[168:171], a[36:37], v[136:137], v[168:171]// 000000005064: D3F300A8 0EA31124
	v_mfma_f32_16x16x32_fp8_fp8 v[168:171], a[38:39], v[138:139], v[168:171]// 00000000506C: D3F300A8 0EA31526
	buffer_load_dwordx4 a[100:103], v37, s[12:15], 0 offen     // 000000005074: E05C1000 80836425
	v_mfma_f32_16x16x32_fp8_fp8 v[172:175], a[36:37], v[152:153], v[172:175]// 00000000507C: D3F300AC 0EB33124
	v_mfma_f32_16x16x32_fp8_fp8 v[172:175], a[38:39], v[154:155], v[172:175]// 000000005084: D3F300AC 0EB33526
	v_mfma_f32_16x16x32_fp8_fp8 v[176:179], a[40:41], v[136:137], v[176:179]// 00000000508C: D3F300B0 0EC31128
	v_mfma_f32_16x16x32_fp8_fp8 v[176:179], a[42:43], v[138:139], v[176:179]// 000000005094: D3F300B0 0EC3152A
	buffer_load_dwordx4 a[104:107], v38, s[12:15], 0 offen     // 00000000509C: E05C1000 80836826
	v_mfma_f32_16x16x32_fp8_fp8 v[180:183], a[40:41], v[152:153], v[180:183]// 0000000050A4: D3F300B4 0ED33128
	v_mfma_f32_16x16x32_fp8_fp8 v[180:183], a[42:43], v[154:155], v[180:183]// 0000000050AC: D3F300B4 0ED3352A
	v_mfma_f32_16x16x32_fp8_fp8 v[184:187], a[44:45], v[136:137], v[184:187]// 0000000050B4: D3F300B8 0EE3112C
	v_mfma_f32_16x16x32_fp8_fp8 v[184:187], a[46:47], v[138:139], v[184:187]// 0000000050BC: D3F300B8 0EE3152E
	buffer_load_dwordx4 a[108:111], v39, s[12:15], 0 offen     // 0000000050C4: E05C1000 80836C27
	s_add_u32 s12, s78, s12                                    // 0000000050CC: 800C0C4E
	s_addc_u32 s13, 0, s13                                     // 0000000050D0: 820D0D80
	v_mfma_f32_16x16x32_fp8_fp8 v[188:191], a[44:45], v[152:153], v[188:191]// 0000000050D4: D3F300BC 0EF3312C
	v_mfma_f32_16x16x32_fp8_fp8 v[188:191], a[46:47], v[154:155], v[188:191]// 0000000050DC: D3F300BC 0EF3352E
	s_waitcnt vmcnt(28)                                        // 0000000050E4: BF8C4F7C
	v_mfma_f32_16x16x32_fp8_fp8 v[160:163], a[48:49], v[140:141], v[160:163]// 0000000050E8: D3F300A0 0E831930
	v_mfma_f32_16x16x32_fp8_fp8 v[160:163], a[50:51], v[142:143], v[160:163]// 0000000050F0: D3F300A0 0E831D32
	buffer_load_dwordx4 a[112:115], v36, s[12:15], 0 offen     // 0000000050F8: E05C1000 80837024
	v_mfma_f32_16x16x32_fp8_fp8 v[164:167], a[48:49], v[156:157], v[164:167]// 000000005100: D3F300A4 0E933930
	v_mfma_f32_16x16x32_fp8_fp8 v[164:167], a[50:51], v[158:159], v[164:167]// 000000005108: D3F300A4 0E933D32
	buffer_load_dword v12, v5, s[16:19], 0 offen               // 000000005110: E0501000 80040C05
	v_mfma_f32_16x16x32_fp8_fp8 v[168:171], a[52:53], v[140:141], v[168:171]// 000000005118: D3F300A8 0EA31934
	v_mfma_f32_16x16x32_fp8_fp8 v[168:171], a[54:55], v[142:143], v[168:171]// 000000005120: D3F300A8 0EA31D36
	buffer_load_dwordx4 a[116:119], v37, s[12:15], 0 offen     // 000000005128: E05C1000 80837425
	v_mfma_f32_16x16x32_fp8_fp8 v[172:175], a[52:53], v[156:157], v[172:175]// 000000005130: D3F300AC 0EB33934
	v_mfma_f32_16x16x32_fp8_fp8 v[172:175], a[54:55], v[158:159], v[172:175]// 000000005138: D3F300AC 0EB33D36
	v_mfma_f32_16x16x32_fp8_fp8 v[176:179], a[56:57], v[140:141], v[176:179]// 000000005140: D3F300B0 0EC31938
	v_mfma_f32_16x16x32_fp8_fp8 v[176:179], a[58:59], v[142:143], v[176:179]// 000000005148: D3F300B0 0EC31D3A
	buffer_load_dwordx4 a[120:123], v38, s[12:15], 0 offen     // 000000005150: E05C1000 80837826
	v_mfma_f32_16x16x32_fp8_fp8 v[180:183], a[56:57], v[156:157], v[180:183]// 000000005158: D3F300B4 0ED33938
	v_mfma_f32_16x16x32_fp8_fp8 v[180:183], a[58:59], v[158:159], v[180:183]// 000000005160: D3F300B4 0ED33D3A
	v_mfma_f32_16x16x32_fp8_fp8 v[184:187], a[60:61], v[140:141], v[184:187]// 000000005168: D3F300B8 0EE3193C
	v_mfma_f32_16x16x32_fp8_fp8 v[184:187], a[62:63], v[142:143], v[184:187]// 000000005170: D3F300B8 0EE31D3E
	buffer_load_dwordx4 a[124:127], v39, s[12:15], 0 offen     // 000000005178: E05C1000 80837C27
	v_mfma_f32_16x16x32_fp8_fp8 v[188:191], a[60:61], v[156:157], v[188:191]// 000000005180: D3F300BC 0EF3393C
	v_mfma_f32_16x16x32_fp8_fp8 v[188:191], a[62:63], v[158:159], v[188:191]// 000000005188: D3F300BC 0EF33D3E
	s_add_u32 s60, 0x200, s80                                  // 000000005190: 803C50FF 00000200
	s_cmp_lt_u32 s60, s81                                      // 000000005198: BF0A513C
	s_cselect_b32 s56, s56, 0                                  // 00000000519C: 85388038
	s_cselect_b32 s78, s78, 0                                  // 0000000051A0: 854E804E
	s_cselect_b32 s79, s79, 0                                  // 0000000051A4: 854F804F
	s_add_u32 s12, s56, s12                                    // 0000000051A8: 800C0C38
	s_addc_u32 s13, 0, s13                                     // 0000000051AC: 820D0D80
	s_add_u32 s16, s79, s16                                    // 0000000051B0: 8010104F
	s_addc_u32 s17, 0, s17                                     // 0000000051B4: 82111180
	v_mul_f32_e32 v160, v22, v160                              // 0000000051B8: 0B414116
	v_mul_f32_e32 v161, v22, v161                              // 0000000051BC: 0B434316
	v_mul_f32_e32 v162, v22, v162                              // 0000000051C0: 0B454516
	v_mul_f32_e32 v163, v22, v163                              // 0000000051C4: 0B474716
	v_mul_f32_dpp v160, v11, v160 row_newbcast:0 row_mask:0xf bank_mask:0xf// 0000000051C8: 0B4140FA FF01500B
	v_mul_f32_dpp v161, v11, v161 row_newbcast:1 row_mask:0xf bank_mask:0xf// 0000000051D0: 0B4342FA FF01510B
	v_mul_f32_dpp v162, v11, v162 row_newbcast:2 row_mask:0xf bank_mask:0xf// 0000000051D8: 0B4544FA FF01520B
	v_mul_f32_dpp v163, v11, v163 row_newbcast:3 row_mask:0xf bank_mask:0xf// 0000000051E0: 0B4746FA FF01530B
	v_mul_f32_e32 v160, v17, v160                              // 0000000051E8: 0B414111
	v_mul_f32_e32 v161, v17, v161                              // 0000000051EC: 0B434311
	v_mul_f32_e32 v162, v17, v162                              // 0000000051F0: 0B454511
	v_mul_f32_e32 v163, v17, v163                              // 0000000051F4: 0B474711
	v_mul_f32_e32 v164, v23, v164                              // 0000000051F8: 0B494917
	v_mul_f32_e32 v165, v23, v165                              // 0000000051FC: 0B4B4B17
	v_mul_f32_e32 v166, v23, v166                              // 000000005200: 0B4D4D17
	v_mul_f32_e32 v167, v23, v167                              // 000000005204: 0B4F4F17
	v_mul_f32_dpp v164, v11, v164 row_newbcast:0 row_mask:0xf bank_mask:0xf// 000000005208: 0B4948FA FF01500B
	v_mul_f32_dpp v165, v11, v165 row_newbcast:1 row_mask:0xf bank_mask:0xf// 000000005210: 0B4B4AFA FF01510B
	v_mul_f32_dpp v166, v11, v166 row_newbcast:2 row_mask:0xf bank_mask:0xf// 000000005218: 0B4D4CFA FF01520B
	v_mul_f32_dpp v167, v11, v167 row_newbcast:3 row_mask:0xf bank_mask:0xf// 000000005220: 0B4F4EFA FF01530B
	v_mul_f32_e32 v164, v18, v164                              // 000000005228: 0B494912
	v_mul_f32_e32 v165, v18, v165                              // 00000000522C: 0B4B4B12
	v_mul_f32_e32 v166, v18, v166                              // 000000005230: 0B4D4D12
	v_mul_f32_e32 v167, v18, v167                              // 000000005234: 0B4F4F12
	v_mul_f32_e32 v168, v22, v168                              // 000000005238: 0B515116
	v_mul_f32_e32 v169, v22, v169                              // 00000000523C: 0B535316
	v_mul_f32_e32 v170, v22, v170                              // 000000005240: 0B555516
	v_mul_f32_e32 v171, v22, v171                              // 000000005244: 0B575716
	v_mul_f32_dpp v168, v11, v168 row_newbcast:4 row_mask:0xf bank_mask:0xf// 000000005248: 0B5150FA FF01540B
	v_mul_f32_dpp v169, v11, v169 row_newbcast:5 row_mask:0xf bank_mask:0xf// 000000005250: 0B5352FA FF01550B
	v_mul_f32_dpp v170, v11, v170 row_newbcast:6 row_mask:0xf bank_mask:0xf// 000000005258: 0B5554FA FF01560B
	v_mul_f32_dpp v171, v11, v171 row_newbcast:7 row_mask:0xf bank_mask:0xf// 000000005260: 0B5756FA FF01570B
	v_mul_f32_e32 v168, v17, v168                              // 000000005268: 0B515111
	v_mul_f32_e32 v169, v17, v169                              // 00000000526C: 0B535311
	v_mul_f32_e32 v170, v17, v170                              // 000000005270: 0B555511
	v_mul_f32_e32 v171, v17, v171                              // 000000005274: 0B575711
	v_mul_f32_e32 v172, v23, v172                              // 000000005278: 0B595917
	v_mul_f32_e32 v173, v23, v173                              // 00000000527C: 0B5B5B17
	v_mul_f32_e32 v174, v23, v174                              // 000000005280: 0B5D5D17
	v_mul_f32_e32 v175, v23, v175                              // 000000005284: 0B5F5F17
	v_mul_f32_dpp v172, v11, v172 row_newbcast:4 row_mask:0xf bank_mask:0xf// 000000005288: 0B5958FA FF01540B
	v_mul_f32_dpp v173, v11, v173 row_newbcast:5 row_mask:0xf bank_mask:0xf// 000000005290: 0B5B5AFA FF01550B
	v_mul_f32_dpp v174, v11, v174 row_newbcast:6 row_mask:0xf bank_mask:0xf// 000000005298: 0B5D5CFA FF01560B
	v_mul_f32_dpp v175, v11, v175 row_newbcast:7 row_mask:0xf bank_mask:0xf// 0000000052A0: 0B5F5EFA FF01570B
	v_mul_f32_e32 v172, v18, v172                              // 0000000052A8: 0B595912
	v_mul_f32_e32 v173, v18, v173                              // 0000000052AC: 0B5B5B12
	v_mul_f32_e32 v174, v18, v174                              // 0000000052B0: 0B5D5D12
	v_mul_f32_e32 v175, v18, v175                              // 0000000052B4: 0B5F5F12
	v_mul_f32_e32 v176, v22, v176                              // 0000000052B8: 0B616116
	v_mul_f32_e32 v177, v22, v177                              // 0000000052BC: 0B636316
	v_mul_f32_e32 v178, v22, v178                              // 0000000052C0: 0B656516
	v_mul_f32_e32 v179, v22, v179                              // 0000000052C4: 0B676716
	v_mul_f32_dpp v176, v11, v176 row_newbcast:8 row_mask:0xf bank_mask:0xf// 0000000052C8: 0B6160FA FF01580B
	v_mul_f32_dpp v177, v11, v177 row_newbcast:9 row_mask:0xf bank_mask:0xf// 0000000052D0: 0B6362FA FF01590B
	v_mul_f32_dpp v178, v11, v178 row_newbcast:10 row_mask:0xf bank_mask:0xf// 0000000052D8: 0B6564FA FF015A0B
	v_mul_f32_dpp v179, v11, v179 row_newbcast:11 row_mask:0xf bank_mask:0xf// 0000000052E0: 0B6766FA FF015B0B
	v_mul_f32_e32 v176, v17, v176                              // 0000000052E8: 0B616111
	v_mul_f32_e32 v177, v17, v177                              // 0000000052EC: 0B636311
	v_mul_f32_e32 v178, v17, v178                              // 0000000052F0: 0B656511
	v_mul_f32_e32 v179, v17, v179                              // 0000000052F4: 0B676711
	v_mul_f32_e32 v180, v23, v180                              // 0000000052F8: 0B696917
	v_mul_f32_e32 v181, v23, v181                              // 0000000052FC: 0B6B6B17
	v_mul_f32_e32 v182, v23, v182                              // 000000005300: 0B6D6D17
	v_mul_f32_e32 v183, v23, v183                              // 000000005304: 0B6F6F17
	v_mul_f32_dpp v180, v11, v180 row_newbcast:8 row_mask:0xf bank_mask:0xf// 000000005308: 0B6968FA FF01580B
	v_mul_f32_dpp v181, v11, v181 row_newbcast:9 row_mask:0xf bank_mask:0xf// 000000005310: 0B6B6AFA FF01590B
	v_mul_f32_dpp v182, v11, v182 row_newbcast:10 row_mask:0xf bank_mask:0xf// 000000005318: 0B6D6CFA FF015A0B
	v_mul_f32_dpp v183, v11, v183 row_newbcast:11 row_mask:0xf bank_mask:0xf// 000000005320: 0B6F6EFA FF015B0B
	v_mul_f32_e32 v180, v18, v180                              // 000000005328: 0B696912
	v_mul_f32_e32 v181, v18, v181                              // 00000000532C: 0B6B6B12
	v_mul_f32_e32 v182, v18, v182                              // 000000005330: 0B6D6D12
	v_mul_f32_e32 v183, v18, v183                              // 000000005334: 0B6F6F12
	v_mul_f32_e32 v184, v22, v184                              // 000000005338: 0B717116
	v_mul_f32_e32 v185, v22, v185                              // 00000000533C: 0B737316
	v_mul_f32_e32 v186, v22, v186                              // 000000005340: 0B757516
	v_mul_f32_e32 v187, v22, v187                              // 000000005344: 0B777716
	v_mul_f32_dpp v184, v11, v184 row_newbcast:12 row_mask:0xf bank_mask:0xf// 000000005348: 0B7170FA FF015C0B
	v_mul_f32_dpp v185, v11, v185 row_newbcast:13 row_mask:0xf bank_mask:0xf// 000000005350: 0B7372FA FF015D0B
	v_mul_f32_dpp v186, v11, v186 row_newbcast:14 row_mask:0xf bank_mask:0xf// 000000005358: 0B7574FA FF015E0B
	v_mul_f32_dpp v187, v11, v187 row_newbcast:15 row_mask:0xf bank_mask:0xf// 000000005360: 0B7776FA FF015F0B
	v_mul_f32_e32 v184, v17, v184                              // 000000005368: 0B717111
	v_mul_f32_e32 v185, v17, v185                              // 00000000536C: 0B737311
	v_mul_f32_e32 v186, v17, v186                              // 000000005370: 0B757511
	v_mul_f32_e32 v187, v17, v187                              // 000000005374: 0B777711
	v_mul_f32_e32 v188, v23, v188                              // 000000005378: 0B797917
	v_mul_f32_e32 v189, v23, v189                              // 00000000537C: 0B7B7B17
	v_mul_f32_e32 v190, v23, v190                              // 000000005380: 0B7D7D17
	v_mul_f32_e32 v191, v23, v191                              // 000000005384: 0B7F7F17
	v_mul_f32_dpp v188, v11, v188 row_newbcast:12 row_mask:0xf bank_mask:0xf// 000000005388: 0B7978FA FF015C0B
	v_mul_f32_dpp v189, v11, v189 row_newbcast:13 row_mask:0xf bank_mask:0xf// 000000005390: 0B7B7AFA FF015D0B
	v_mul_f32_dpp v190, v11, v190 row_newbcast:14 row_mask:0xf bank_mask:0xf// 000000005398: 0B7D7CFA FF015E0B
	v_mul_f32_dpp v191, v11, v191 row_newbcast:15 row_mask:0xf bank_mask:0xf// 0000000053A0: 0B7F7EFA FF015F0B
	v_mul_f32_e32 v188, v18, v188                              // 0000000053A8: 0B797912
	v_mul_f32_e32 v189, v18, v189                              // 0000000053AC: 0B7B7B12
	v_mul_f32_e32 v190, v18, v190                              // 0000000053B0: 0B7D7D12
	v_mul_f32_e32 v191, v18, v191                              // 0000000053B4: 0B7F7F12
	v_cmp_u_f32_e64 s[48:49], v160, v160                       // 0000000053B8: D0480030 000341A0
	v_add3_u32 v40, v160, v43, 1                               // 0000000053C0: D1FF0028 020657A0
	v_cndmask_b32_e64 v46, v40, v42, s[48:49]                  // 0000000053C8: D100002E 00C25528
	v_cmp_u_f32_e64 s[48:49], v161, v161                       // 0000000053D0: D0480030 000343A1
	v_add3_u32 v40, v161, v43, 1                               // 0000000053D8: D1FF0028 020657A1
	v_cndmask_b32_e64 v47, v40, v42, s[48:49]                  // 0000000053E0: D100002F 00C25528
	v_perm_b32 v160, v47, v46, s52                             // 0000000053E8: D1ED00A0 00D25D2F
	v_cmp_u_f32_e64 s[48:49], v162, v162                       // 0000000053F0: D0480030 000345A2
	v_add3_u32 v40, v162, v43, 1                               // 0000000053F8: D1FF0028 020657A2
	v_cndmask_b32_e64 v46, v40, v42, s[48:49]                  // 000000005400: D100002E 00C25528
	v_cmp_u_f32_e64 s[48:49], v163, v163                       // 000000005408: D0480030 000347A3
	v_add3_u32 v40, v163, v43, 1                               // 000000005410: D1FF0028 020657A3
	v_cndmask_b32_e64 v47, v40, v42, s[48:49]                  // 000000005418: D100002F 00C25528
	v_perm_b32 v161, v47, v46, s52                             // 000000005420: D1ED00A1 00D25D2F
	v_cmp_u_f32_e64 s[48:49], v164, v164                       // 000000005428: D0480030 000349A4
	v_add3_u32 v40, v164, v43, 1                               // 000000005430: D1FF0028 020657A4
	v_cndmask_b32_e64 v46, v40, v42, s[48:49]                  // 000000005438: D100002E 00C25528
	v_cmp_u_f32_e64 s[48:49], v165, v165                       // 000000005440: D0480030 00034BA5
	v_add3_u32 v40, v165, v43, 1                               // 000000005448: D1FF0028 020657A5
	v_cndmask_b32_e64 v47, v40, v42, s[48:49]                  // 000000005450: D100002F 00C25528
	v_perm_b32 v162, v47, v46, s52                             // 000000005458: D1ED00A2 00D25D2F
	v_cmp_u_f32_e64 s[48:49], v166, v166                       // 000000005460: D0480030 00034DA6
	v_add3_u32 v40, v166, v43, 1                               // 000000005468: D1FF0028 020657A6
	v_cndmask_b32_e64 v46, v40, v42, s[48:49]                  // 000000005470: D100002E 00C25528
	v_cmp_u_f32_e64 s[48:49], v167, v167                       // 000000005478: D0480030 00034FA7
	v_add3_u32 v40, v167, v43, 1                               // 000000005480: D1FF0028 020657A7
	v_cndmask_b32_e64 v47, v40, v42, s[48:49]                  // 000000005488: D100002F 00C25528
	v_perm_b32 v163, v47, v46, s52                             // 000000005490: D1ED00A3 00D25D2F
	v_cmp_u_f32_e64 s[48:49], v168, v168                       // 000000005498: D0480030 000351A8
	v_add3_u32 v40, v168, v43, 1                               // 0000000054A0: D1FF0028 020657A8
	v_cndmask_b32_e64 v46, v40, v42, s[48:49]                  // 0000000054A8: D100002E 00C25528
	v_cmp_u_f32_e64 s[48:49], v169, v169                       // 0000000054B0: D0480030 000353A9
	v_add3_u32 v40, v169, v43, 1                               // 0000000054B8: D1FF0028 020657A9
	v_cndmask_b32_e64 v47, v40, v42, s[48:49]                  // 0000000054C0: D100002F 00C25528
	v_perm_b32 v164, v47, v46, s52                             // 0000000054C8: D1ED00A4 00D25D2F
	v_cmp_u_f32_e64 s[48:49], v170, v170                       // 0000000054D0: D0480030 000355AA
	v_add3_u32 v40, v170, v43, 1                               // 0000000054D8: D1FF0028 020657AA
	v_cndmask_b32_e64 v46, v40, v42, s[48:49]                  // 0000000054E0: D100002E 00C25528
	v_cmp_u_f32_e64 s[48:49], v171, v171                       // 0000000054E8: D0480030 000357AB
	v_add3_u32 v40, v171, v43, 1                               // 0000000054F0: D1FF0028 020657AB
	v_cndmask_b32_e64 v47, v40, v42, s[48:49]                  // 0000000054F8: D100002F 00C25528
	v_perm_b32 v165, v47, v46, s52                             // 000000005500: D1ED00A5 00D25D2F
	v_cmp_u_f32_e64 s[48:49], v172, v172                       // 000000005508: D0480030 000359AC
	v_add3_u32 v40, v172, v43, 1                               // 000000005510: D1FF0028 020657AC
	v_cndmask_b32_e64 v46, v40, v42, s[48:49]                  // 000000005518: D100002E 00C25528
	v_cmp_u_f32_e64 s[48:49], v173, v173                       // 000000005520: D0480030 00035BAD
	v_add3_u32 v40, v173, v43, 1                               // 000000005528: D1FF0028 020657AD
	v_cndmask_b32_e64 v47, v40, v42, s[48:49]                  // 000000005530: D100002F 00C25528
	v_perm_b32 v166, v47, v46, s52                             // 000000005538: D1ED00A6 00D25D2F
	v_cmp_u_f32_e64 s[48:49], v174, v174                       // 000000005540: D0480030 00035DAE
	v_add3_u32 v40, v174, v43, 1                               // 000000005548: D1FF0028 020657AE
	v_cndmask_b32_e64 v46, v40, v42, s[48:49]                  // 000000005550: D100002E 00C25528
	v_cmp_u_f32_e64 s[48:49], v175, v175                       // 000000005558: D0480030 00035FAF
	v_add3_u32 v40, v175, v43, 1                               // 000000005560: D1FF0028 020657AF
	v_cndmask_b32_e64 v47, v40, v42, s[48:49]                  // 000000005568: D100002F 00C25528
	v_perm_b32 v167, v47, v46, s52                             // 000000005570: D1ED00A7 00D25D2F
	v_cmp_u_f32_e64 s[48:49], v176, v176                       // 000000005578: D0480030 000361B0
	v_add3_u32 v40, v176, v43, 1                               // 000000005580: D1FF0028 020657B0
	v_cndmask_b32_e64 v46, v40, v42, s[48:49]                  // 000000005588: D100002E 00C25528
	v_cmp_u_f32_e64 s[48:49], v177, v177                       // 000000005590: D0480030 000363B1
	v_add3_u32 v40, v177, v43, 1                               // 000000005598: D1FF0028 020657B1
	v_cndmask_b32_e64 v47, v40, v42, s[48:49]                  // 0000000055A0: D100002F 00C25528
	v_perm_b32 v168, v47, v46, s52                             // 0000000055A8: D1ED00A8 00D25D2F
	v_cmp_u_f32_e64 s[48:49], v178, v178                       // 0000000055B0: D0480030 000365B2
	v_add3_u32 v40, v178, v43, 1                               // 0000000055B8: D1FF0028 020657B2
	v_cndmask_b32_e64 v46, v40, v42, s[48:49]                  // 0000000055C0: D100002E 00C25528
	v_cmp_u_f32_e64 s[48:49], v179, v179                       // 0000000055C8: D0480030 000367B3
	v_add3_u32 v40, v179, v43, 1                               // 0000000055D0: D1FF0028 020657B3
	v_cndmask_b32_e64 v47, v40, v42, s[48:49]                  // 0000000055D8: D100002F 00C25528
	v_perm_b32 v169, v47, v46, s52                             // 0000000055E0: D1ED00A9 00D25D2F
	v_cmp_u_f32_e64 s[48:49], v180, v180                       // 0000000055E8: D0480030 000369B4
	v_add3_u32 v40, v180, v43, 1                               // 0000000055F0: D1FF0028 020657B4
	v_cndmask_b32_e64 v46, v40, v42, s[48:49]                  // 0000000055F8: D100002E 00C25528
	v_cmp_u_f32_e64 s[48:49], v181, v181                       // 000000005600: D0480030 00036BB5
	v_add3_u32 v40, v181, v43, 1                               // 000000005608: D1FF0028 020657B5
	v_cndmask_b32_e64 v47, v40, v42, s[48:49]                  // 000000005610: D100002F 00C25528
	v_perm_b32 v170, v47, v46, s52                             // 000000005618: D1ED00AA 00D25D2F
	v_cmp_u_f32_e64 s[48:49], v182, v182                       // 000000005620: D0480030 00036DB6
	v_add3_u32 v40, v182, v43, 1                               // 000000005628: D1FF0028 020657B6
	v_cndmask_b32_e64 v46, v40, v42, s[48:49]                  // 000000005630: D100002E 00C25528
	v_cmp_u_f32_e64 s[48:49], v183, v183                       // 000000005638: D0480030 00036FB7
	v_add3_u32 v40, v183, v43, 1                               // 000000005640: D1FF0028 020657B7
	v_cndmask_b32_e64 v47, v40, v42, s[48:49]                  // 000000005648: D100002F 00C25528
	v_perm_b32 v171, v47, v46, s52                             // 000000005650: D1ED00AB 00D25D2F
	v_cmp_u_f32_e64 s[48:49], v184, v184                       // 000000005658: D0480030 000371B8
	v_add3_u32 v40, v184, v43, 1                               // 000000005660: D1FF0028 020657B8
	v_cndmask_b32_e64 v46, v40, v42, s[48:49]                  // 000000005668: D100002E 00C25528
	v_cmp_u_f32_e64 s[48:49], v185, v185                       // 000000005670: D0480030 000373B9
	v_add3_u32 v40, v185, v43, 1                               // 000000005678: D1FF0028 020657B9
	v_cndmask_b32_e64 v47, v40, v42, s[48:49]                  // 000000005680: D100002F 00C25528
	v_perm_b32 v172, v47, v46, s52                             // 000000005688: D1ED00AC 00D25D2F
	v_cmp_u_f32_e64 s[48:49], v186, v186                       // 000000005690: D0480030 000375BA
	v_add3_u32 v40, v186, v43, 1                               // 000000005698: D1FF0028 020657BA
	v_cndmask_b32_e64 v46, v40, v42, s[48:49]                  // 0000000056A0: D100002E 00C25528
	v_cmp_u_f32_e64 s[48:49], v187, v187                       // 0000000056A8: D0480030 000377BB
	v_add3_u32 v40, v187, v43, 1                               // 0000000056B0: D1FF0028 020657BB
	v_cndmask_b32_e64 v47, v40, v42, s[48:49]                  // 0000000056B8: D100002F 00C25528
	v_perm_b32 v173, v47, v46, s52                             // 0000000056C0: D1ED00AD 00D25D2F
	v_cmp_u_f32_e64 s[48:49], v188, v188                       // 0000000056C8: D0480030 000379BC
	v_add3_u32 v40, v188, v43, 1                               // 0000000056D0: D1FF0028 020657BC
	v_cndmask_b32_e64 v46, v40, v42, s[48:49]                  // 0000000056D8: D100002E 00C25528
	v_cmp_u_f32_e64 s[48:49], v189, v189                       // 0000000056E0: D0480030 00037BBD
	v_add3_u32 v40, v189, v43, 1                               // 0000000056E8: D1FF0028 020657BD
	v_cndmask_b32_e64 v47, v40, v42, s[48:49]                  // 0000000056F0: D100002F 00C25528
	v_perm_b32 v174, v47, v46, s52                             // 0000000056F8: D1ED00AE 00D25D2F
	v_cmp_u_f32_e64 s[48:49], v190, v190                       // 000000005700: D0480030 00037DBE
	v_add3_u32 v40, v190, v43, 1                               // 000000005708: D1FF0028 020657BE
	v_cndmask_b32_e64 v46, v40, v42, s[48:49]                  // 000000005710: D100002E 00C25528
	v_cmp_u_f32_e64 s[48:49], v191, v191                       // 000000005718: D0480030 00037FBF
	v_add3_u32 v40, v191, v43, 1                               // 000000005720: D1FF0028 020657BF
	v_cndmask_b32_e64 v47, v40, v42, s[48:49]                  // 000000005728: D100002F 00C25528
	v_perm_b32 v175, v47, v46, s52                             // 000000005730: D1ED00AF 00D25D2F
	ds_write_b64 v3, v[160:161] offset:26880                   // 000000005738: D89A6900 0000A003
	ds_write_b64 v3, v[162:163] offset:35584                   // 000000005740: D89A8B00 0000A203
	ds_write_b64 v3, v[164:165] offset:29056                   // 000000005748: D89A7180 0000A403
	ds_write_b64 v3, v[166:167] offset:37760                   // 000000005750: D89A9380 0000A603
	ds_write_b64 v3, v[168:169] offset:31232                   // 000000005758: D89A7A00 0000A803
	ds_write_b64 v3, v[170:171] offset:39936                   // 000000005760: D89A9C00 0000AA03
	ds_write_b64 v3, v[172:173] offset:33408                   // 000000005768: D89A8280 0000AC03
	ds_write_b64 v3, v[174:175] offset:42112                   // 000000005770: D89AA480 0000AE03
	s_waitcnt lgkmcnt(0)                                       // 000000005778: BF8CC07F
	s_barrier                                                  // 00000000577C: BF8A0000
	ds_read_b32 v64, v4 offset:26880                           // 000000005780: D86C6900 40000004
	ds_read_b32 v65, v4 offset:31232                           // 000000005788: D86C7A00 41000004
	ds_read_b32 v66, v4 offset:26912                           // 000000005790: D86C6920 42000004
	ds_read_b32 v67, v4 offset:31264                           // 000000005798: D86C7A20 43000004
	ds_read_b32 v68, v4 offset:26944                           // 0000000057A0: D86C6940 44000004
	ds_read_b32 v69, v4 offset:31296                           // 0000000057A8: D86C7A40 45000004
	ds_read_b32 v70, v4 offset:26976                           // 0000000057B0: D86C6960 46000004
	ds_read_b32 v71, v4 offset:31328                           // 0000000057B8: D86C7A60 47000004
	ds_read_b32 v72, v4 offset:35584                           // 0000000057C0: D86C8B00 48000004
	ds_read_b32 v73, v4 offset:39936                           // 0000000057C8: D86C9C00 49000004
	ds_read_b32 v74, v4 offset:35616                           // 0000000057D0: D86C8B20 4A000004
	ds_read_b32 v75, v4 offset:39968                           // 0000000057D8: D86C9C20 4B000004
	ds_read_b32 v76, v4 offset:35648                           // 0000000057E0: D86C8B40 4C000004
	ds_read_b32 v77, v4 offset:40000                           // 0000000057E8: D86C9C40 4D000004
	ds_read_b32 v78, v4 offset:35680                           // 0000000057F0: D86C8B60 4E000004
	ds_read_b32 v79, v4 offset:40032                           // 0000000057F8: D86C9C60 4F000004
	s_waitcnt lgkmcnt(0)                                       // 000000005800: BF8CC07F
	s_mov_b64 exec, s[20:21]                                   // 000000005804: BEFE0114
	global_atomic_pk_add_bf16 v80, v64, s[8:9]                 // 000000005808: DD488000 00084050
	s_mov_b64 exec, s[36:37]                                   // 000000005810: BEFE0124
	s_mov_b64 exec, s[20:21]                                   // 000000005814: BEFE0114
	global_atomic_pk_add_bf16 v80, v65, s[8:9] offset:256      // 000000005818: DD488100 00084150
	s_mov_b64 exec, s[36:37]                                   // 000000005820: BEFE0124
	s_mov_b64 exec, s[22:23]                                   // 000000005824: BEFE0116
	global_atomic_pk_add_bf16 v82, v66, s[8:9]                 // 000000005828: DD488000 00084252
	s_mov_b64 exec, s[36:37]                                   // 000000005830: BEFE0124
	s_mov_b64 exec, s[22:23]                                   // 000000005834: BEFE0116
	global_atomic_pk_add_bf16 v82, v67, s[8:9] offset:256      // 000000005838: DD488100 00084352
	s_mov_b64 exec, s[36:37]                                   // 000000005840: BEFE0124
	s_mov_b64 exec, s[24:25]                                   // 000000005844: BEFE0118
	global_atomic_pk_add_bf16 v84, v68, s[8:9]                 // 000000005848: DD488000 00084454
	s_mov_b64 exec, s[36:37]                                   // 000000005850: BEFE0124
	s_mov_b64 exec, s[24:25]                                   // 000000005854: BEFE0118
	global_atomic_pk_add_bf16 v84, v69, s[8:9] offset:256      // 000000005858: DD488100 00084554
	s_mov_b64 exec, s[36:37]                                   // 000000005860: BEFE0124
	s_mov_b64 exec, s[26:27]                                   // 000000005864: BEFE011A
	global_atomic_pk_add_bf16 v86, v70, s[8:9]                 // 000000005868: DD488000 00084656
	s_mov_b64 exec, s[36:37]                                   // 000000005870: BEFE0124
	s_mov_b64 exec, s[26:27]                                   // 000000005874: BEFE011A
	global_atomic_pk_add_bf16 v86, v71, s[8:9] offset:256      // 000000005878: DD488100 00084756
	s_mov_b64 exec, s[36:37]                                   // 000000005880: BEFE0124
	s_mov_b64 exec, s[28:29]                                   // 000000005884: BEFE011C
	global_atomic_pk_add_bf16 v88, v72, s[8:9]                 // 000000005888: DD488000 00084858
	s_mov_b64 exec, s[36:37]                                   // 000000005890: BEFE0124
	s_mov_b64 exec, s[28:29]                                   // 000000005894: BEFE011C
	global_atomic_pk_add_bf16 v88, v73, s[8:9] offset:256      // 000000005898: DD488100 00084958
	s_mov_b64 exec, s[36:37]                                   // 0000000058A0: BEFE0124
	s_mov_b64 exec, s[30:31]                                   // 0000000058A4: BEFE011E
	global_atomic_pk_add_bf16 v90, v74, s[8:9]                 // 0000000058A8: DD488000 00084A5A
	s_mov_b64 exec, s[36:37]                                   // 0000000058B0: BEFE0124
	s_mov_b64 exec, s[30:31]                                   // 0000000058B4: BEFE011E
	global_atomic_pk_add_bf16 v90, v75, s[8:9] offset:256      // 0000000058B8: DD488100 00084B5A
	s_mov_b64 exec, s[36:37]                                   // 0000000058C0: BEFE0124
	s_mov_b64 exec, s[32:33]                                   // 0000000058C4: BEFE0120
	global_atomic_pk_add_bf16 v92, v76, s[8:9]                 // 0000000058C8: DD488000 00084C5C
	s_mov_b64 exec, s[36:37]                                   // 0000000058D0: BEFE0124
	s_mov_b64 exec, s[32:33]                                   // 0000000058D4: BEFE0120
	global_atomic_pk_add_bf16 v92, v77, s[8:9] offset:256      // 0000000058D8: DD488100 00084D5C
	s_mov_b64 exec, s[36:37]                                   // 0000000058E0: BEFE0124
	s_mov_b64 exec, s[34:35]                                   // 0000000058E4: BEFE0122
	global_atomic_pk_add_bf16 v94, v78, s[8:9]                 // 0000000058E8: DD488000 00084E5E
	s_mov_b64 exec, s[36:37]                                   // 0000000058F0: BEFE0124
	s_mov_b64 exec, s[34:35]                                   // 0000000058F4: BEFE0122
	global_atomic_pk_add_bf16 v94, v79, s[8:9] offset:256      // 0000000058F8: DD488100 00084F5E
	s_mov_b64 exec, s[36:37]                                   // 000000005900: BEFE0124
	s_add_u32 s8, s59, s8                                      // 000000005904: 8008083B
	s_addc_u32 s9, 0, s9                                       // 000000005908: 82090980
	s_addk_i32 s80, 0x100                                      // 00000000590C: B7500100
	s_cmp_lt_i32 s80, s81                                      // 000000005910: BF045150
	s_cbranch_scc0 label_0E16                                  // 000000005914: BF840290
	s_waitcnt vmcnt(29)                                        // 000000005918: BF8C4F7D
	s_barrier                                                  // 00000000591C: BF8A0000
	v_mfma_f32_16x16x32_fp8_fp8 v[192:195], a[64:65], v[128:129], 0// 000000005920: D3F300C0 0A030140
	v_mfma_f32_16x16x32_fp8_fp8 v[192:195], a[66:67], v[130:131], v[192:195]// 000000005928: D3F300C0 0F030542
	buffer_load_dwordx4 a[0:3], v36, s[12:15], 0 offen         // 000000005930: E05C1000 80830024
	v_mfma_f32_16x16x32_fp8_fp8 v[196:199], a[64:65], v[144:145], 0// 000000005938: D3F300C4 0A032140
	v_mfma_f32_16x16x32_fp8_fp8 v[196:199], a[66:67], v[146:147], v[196:199]// 000000005940: D3F300C4 0F132542
	v_mfma_f32_16x16x32_fp8_fp8 v[200:203], a[68:69], v[128:129], 0// 000000005948: D3F300C8 0A030144
	v_mfma_f32_16x16x32_fp8_fp8 v[200:203], a[70:71], v[130:131], v[200:203]// 000000005950: D3F300C8 0F230546
	buffer_load_dwordx4 a[4:7], v37, s[12:15], 0 offen         // 000000005958: E05C1000 80830425
	v_mfma_f32_16x16x32_fp8_fp8 v[204:207], a[68:69], v[144:145], 0// 000000005960: D3F300CC 0A032144
	v_mfma_f32_16x16x32_fp8_fp8 v[204:207], a[70:71], v[146:147], v[204:207]// 000000005968: D3F300CC 0F332546
	v_mfma_f32_16x16x32_fp8_fp8 v[208:211], a[72:73], v[128:129], 0// 000000005970: D3F300D0 0A030148
	v_mfma_f32_16x16x32_fp8_fp8 v[208:211], a[74:75], v[130:131], v[208:211]// 000000005978: D3F300D0 0F43054A
	buffer_load_dwordx4 a[8:11], v38, s[12:15], 0 offen        // 000000005980: E05C1000 80830826
	v_mfma_f32_16x16x32_fp8_fp8 v[212:215], a[72:73], v[144:145], 0// 000000005988: D3F300D4 0A032148
	v_mfma_f32_16x16x32_fp8_fp8 v[212:215], a[74:75], v[146:147], v[212:215]// 000000005990: D3F300D4 0F53254A
	v_mfma_f32_16x16x32_fp8_fp8 v[216:219], a[76:77], v[128:129], 0// 000000005998: D3F300D8 0A03014C
	v_mfma_f32_16x16x32_fp8_fp8 v[216:219], a[78:79], v[130:131], v[216:219]// 0000000059A0: D3F300D8 0F63054E
	buffer_load_dwordx4 a[12:15], v39, s[12:15], 0 offen       // 0000000059A8: E05C1000 80830C27
	s_add_u32 s12, s78, s12                                    // 0000000059B0: 800C0C4E
	s_addc_u32 s13, 0, s13                                     // 0000000059B4: 820D0D80
	v_mfma_f32_16x16x32_fp8_fp8 v[220:223], a[76:77], v[144:145], 0// 0000000059B8: D3F300DC 0A03214C
	v_mfma_f32_16x16x32_fp8_fp8 v[220:223], a[78:79], v[146:147], v[220:223]// 0000000059C0: D3F300DC 0F73254E
	s_waitcnt vmcnt(29)                                        // 0000000059C8: BF8C4F7D
	v_mfma_f32_16x16x32_fp8_fp8 v[192:195], a[80:81], v[132:133], v[192:195]// 0000000059CC: D3F300C0 0F030950
	v_mfma_f32_16x16x32_fp8_fp8 v[192:195], a[82:83], v[134:135], v[192:195]// 0000000059D4: D3F300C0 0F030D52
	buffer_load_dwordx4 a[16:19], v36, s[12:15], 0 offen       // 0000000059DC: E05C1000 80831024
	v_mfma_f32_16x16x32_fp8_fp8 v[196:199], a[80:81], v[148:149], v[196:199]// 0000000059E4: D3F300C4 0F132950
	v_mfma_f32_16x16x32_fp8_fp8 v[196:199], a[82:83], v[150:151], v[196:199]// 0000000059EC: D3F300C4 0F132D52
	v_mfma_f32_16x16x32_fp8_fp8 v[200:203], a[84:85], v[132:133], v[200:203]// 0000000059F4: D3F300C8 0F230954
	v_mfma_f32_16x16x32_fp8_fp8 v[200:203], a[86:87], v[134:135], v[200:203]// 0000000059FC: D3F300C8 0F230D56
	buffer_load_dwordx4 a[20:23], v37, s[12:15], 0 offen       // 000000005A04: E05C1000 80831425
	v_mfma_f32_16x16x32_fp8_fp8 v[204:207], a[84:85], v[148:149], v[204:207]// 000000005A0C: D3F300CC 0F332954
	v_mfma_f32_16x16x32_fp8_fp8 v[204:207], a[86:87], v[150:151], v[204:207]// 000000005A14: D3F300CC 0F332D56
	v_mfma_f32_16x16x32_fp8_fp8 v[208:211], a[88:89], v[132:133], v[208:211]// 000000005A1C: D3F300D0 0F430958
	v_mfma_f32_16x16x32_fp8_fp8 v[208:211], a[90:91], v[134:135], v[208:211]// 000000005A24: D3F300D0 0F430D5A
	buffer_load_dwordx4 a[24:27], v38, s[12:15], 0 offen       // 000000005A2C: E05C1000 80831826
	v_mfma_f32_16x16x32_fp8_fp8 v[212:215], a[88:89], v[148:149], v[212:215]// 000000005A34: D3F300D4 0F532958
	v_mfma_f32_16x16x32_fp8_fp8 v[212:215], a[90:91], v[150:151], v[212:215]// 000000005A3C: D3F300D4 0F532D5A
	v_mfma_f32_16x16x32_fp8_fp8 v[216:219], a[92:93], v[132:133], v[216:219]// 000000005A44: D3F300D8 0F63095C
	v_mfma_f32_16x16x32_fp8_fp8 v[216:219], a[94:95], v[134:135], v[216:219]// 000000005A4C: D3F300D8 0F630D5E
	buffer_load_dwordx4 a[28:31], v39, s[12:15], 0 offen       // 000000005A54: E05C1000 80831C27
	s_add_u32 s12, s78, s12                                    // 000000005A5C: 800C0C4E
	s_addc_u32 s13, 0, s13                                     // 000000005A60: 820D0D80
	v_mfma_f32_16x16x32_fp8_fp8 v[220:223], a[92:93], v[148:149], v[220:223]// 000000005A64: D3F300DC 0F73295C
	v_mfma_f32_16x16x32_fp8_fp8 v[220:223], a[94:95], v[150:151], v[220:223]// 000000005A6C: D3F300DC 0F732D5E
	s_waitcnt vmcnt(29)                                        // 000000005A74: BF8C4F7D
	v_mfma_f32_16x16x32_fp8_fp8 v[192:195], a[96:97], v[136:137], v[192:195]// 000000005A78: D3F300C0 0F031160
	v_mfma_f32_16x16x32_fp8_fp8 v[192:195], a[98:99], v[138:139], v[192:195]// 000000005A80: D3F300C0 0F031562
	buffer_load_dwordx4 a[32:35], v36, s[12:15], 0 offen       // 000000005A88: E05C1000 80832024
	v_mfma_f32_16x16x32_fp8_fp8 v[196:199], a[96:97], v[152:153], v[196:199]// 000000005A90: D3F300C4 0F133160
	v_mfma_f32_16x16x32_fp8_fp8 v[196:199], a[98:99], v[154:155], v[196:199]// 000000005A98: D3F300C4 0F133562
	v_mfma_f32_16x16x32_fp8_fp8 v[200:203], a[100:101], v[136:137], v[200:203]// 000000005AA0: D3F300C8 0F231164
	v_mfma_f32_16x16x32_fp8_fp8 v[200:203], a[102:103], v[138:139], v[200:203]// 000000005AA8: D3F300C8 0F231566
	buffer_load_dwordx4 a[36:39], v37, s[12:15], 0 offen       // 000000005AB0: E05C1000 80832425
	v_mfma_f32_16x16x32_fp8_fp8 v[204:207], a[100:101], v[152:153], v[204:207]// 000000005AB8: D3F300CC 0F333164
	v_mfma_f32_16x16x32_fp8_fp8 v[204:207], a[102:103], v[154:155], v[204:207]// 000000005AC0: D3F300CC 0F333566
	v_mfma_f32_16x16x32_fp8_fp8 v[208:211], a[104:105], v[136:137], v[208:211]// 000000005AC8: D3F300D0 0F431168
	v_mfma_f32_16x16x32_fp8_fp8 v[208:211], a[106:107], v[138:139], v[208:211]// 000000005AD0: D3F300D0 0F43156A
	buffer_load_dwordx4 a[40:43], v38, s[12:15], 0 offen       // 000000005AD8: E05C1000 80832826
	v_mfma_f32_16x16x32_fp8_fp8 v[212:215], a[104:105], v[152:153], v[212:215]// 000000005AE0: D3F300D4 0F533168
	v_mfma_f32_16x16x32_fp8_fp8 v[212:215], a[106:107], v[154:155], v[212:215]// 000000005AE8: D3F300D4 0F53356A
	v_mfma_f32_16x16x32_fp8_fp8 v[216:219], a[108:109], v[136:137], v[216:219]// 000000005AF0: D3F300D8 0F63116C
	v_mfma_f32_16x16x32_fp8_fp8 v[216:219], a[110:111], v[138:139], v[216:219]// 000000005AF8: D3F300D8 0F63156E
	buffer_load_dwordx4 a[44:47], v39, s[12:15], 0 offen       // 000000005B00: E05C1000 80832C27
	s_add_u32 s12, s78, s12                                    // 000000005B08: 800C0C4E
	s_addc_u32 s13, 0, s13                                     // 000000005B0C: 820D0D80
	v_mfma_f32_16x16x32_fp8_fp8 v[220:223], a[108:109], v[152:153], v[220:223]// 000000005B10: D3F300DC 0F73316C
	v_mfma_f32_16x16x32_fp8_fp8 v[220:223], a[110:111], v[154:155], v[220:223]// 000000005B18: D3F300DC 0F73356E
	s_waitcnt vmcnt(28)                                        // 000000005B20: BF8C4F7C
	v_mfma_f32_16x16x32_fp8_fp8 v[192:195], a[112:113], v[140:141], v[192:195]// 000000005B24: D3F300C0 0F031970
	v_mfma_f32_16x16x32_fp8_fp8 v[192:195], a[114:115], v[142:143], v[192:195]// 000000005B2C: D3F300C0 0F031D72
	buffer_load_dwordx4 a[48:51], v36, s[12:15], 0 offen       // 000000005B34: E05C1000 80833024
	v_mfma_f32_16x16x32_fp8_fp8 v[196:199], a[112:113], v[156:157], v[196:199]// 000000005B3C: D3F300C4 0F133970
	v_mfma_f32_16x16x32_fp8_fp8 v[196:199], a[114:115], v[158:159], v[196:199]// 000000005B44: D3F300C4 0F133D72
	buffer_load_dword v11, v5, s[16:19], 0 offen               // 000000005B4C: E0501000 80040B05
	v_mfma_f32_16x16x32_fp8_fp8 v[200:203], a[116:117], v[140:141], v[200:203]// 000000005B54: D3F300C8 0F231974
	v_mfma_f32_16x16x32_fp8_fp8 v[200:203], a[118:119], v[142:143], v[200:203]// 000000005B5C: D3F300C8 0F231D76
	buffer_load_dwordx4 a[52:55], v37, s[12:15], 0 offen       // 000000005B64: E05C1000 80833425
	v_mfma_f32_16x16x32_fp8_fp8 v[204:207], a[116:117], v[156:157], v[204:207]// 000000005B6C: D3F300CC 0F333974
	v_mfma_f32_16x16x32_fp8_fp8 v[204:207], a[118:119], v[158:159], v[204:207]// 000000005B74: D3F300CC 0F333D76
	v_mfma_f32_16x16x32_fp8_fp8 v[208:211], a[120:121], v[140:141], v[208:211]// 000000005B7C: D3F300D0 0F431978
	v_mfma_f32_16x16x32_fp8_fp8 v[208:211], a[122:123], v[142:143], v[208:211]// 000000005B84: D3F300D0 0F431D7A
	buffer_load_dwordx4 a[56:59], v38, s[12:15], 0 offen       // 000000005B8C: E05C1000 80833826
	v_mfma_f32_16x16x32_fp8_fp8 v[212:215], a[120:121], v[156:157], v[212:215]// 000000005B94: D3F300D4 0F533978
	v_mfma_f32_16x16x32_fp8_fp8 v[212:215], a[122:123], v[158:159], v[212:215]// 000000005B9C: D3F300D4 0F533D7A
	v_mfma_f32_16x16x32_fp8_fp8 v[216:219], a[124:125], v[140:141], v[216:219]// 000000005BA4: D3F300D8 0F63197C
	v_mfma_f32_16x16x32_fp8_fp8 v[216:219], a[126:127], v[142:143], v[216:219]// 000000005BAC: D3F300D8 0F631D7E
	buffer_load_dwordx4 a[60:63], v39, s[12:15], 0 offen       // 000000005BB4: E05C1000 80833C27
	v_mfma_f32_16x16x32_fp8_fp8 v[220:223], a[124:125], v[156:157], v[220:223]// 000000005BBC: D3F300DC 0F73397C
	v_mfma_f32_16x16x32_fp8_fp8 v[220:223], a[126:127], v[158:159], v[220:223]// 000000005BC4: D3F300DC 0F733D7E
	s_add_u32 s60, 0x200, s80                                  // 000000005BCC: 803C50FF 00000200
	s_cmp_lt_u32 s60, s81                                      // 000000005BD4: BF0A513C
	s_cselect_b32 s56, s56, 0                                  // 000000005BD8: 85388038
	s_cselect_b32 s78, s78, 0                                  // 000000005BDC: 854E804E
	s_cselect_b32 s79, s79, 0                                  // 000000005BE0: 854F804F
	s_add_u32 s12, s56, s12                                    // 000000005BE4: 800C0C38
	s_addc_u32 s13, 0, s13                                     // 000000005BE8: 820D0D80
	s_add_u32 s16, s79, s16                                    // 000000005BEC: 8010104F
	s_addc_u32 s17, 0, s17                                     // 000000005BF0: 82111180
	v_mul_f32_e32 v192, v22, v192                              // 000000005BF4: 0B818116
	v_mul_f32_e32 v193, v22, v193                              // 000000005BF8: 0B838316
	v_mul_f32_e32 v194, v22, v194                              // 000000005BFC: 0B858516
	v_mul_f32_e32 v195, v22, v195                              // 000000005C00: 0B878716
	v_mul_f32_dpp v192, v12, v192 row_newbcast:0 row_mask:0xf bank_mask:0xf// 000000005C04: 0B8180FA FF01500C
	v_mul_f32_dpp v193, v12, v193 row_newbcast:1 row_mask:0xf bank_mask:0xf// 000000005C0C: 0B8382FA FF01510C
	v_mul_f32_dpp v194, v12, v194 row_newbcast:2 row_mask:0xf bank_mask:0xf// 000000005C14: 0B8584FA FF01520C
	v_mul_f32_dpp v195, v12, v195 row_newbcast:3 row_mask:0xf bank_mask:0xf// 000000005C1C: 0B8786FA FF01530C
	v_mul_f32_e32 v192, v17, v192                              // 000000005C24: 0B818111
	v_mul_f32_e32 v193, v17, v193                              // 000000005C28: 0B838311
	v_mul_f32_e32 v194, v17, v194                              // 000000005C2C: 0B858511
	v_mul_f32_e32 v195, v17, v195                              // 000000005C30: 0B878711
	v_mul_f32_e32 v196, v23, v196                              // 000000005C34: 0B898917
	v_mul_f32_e32 v197, v23, v197                              // 000000005C38: 0B8B8B17
	v_mul_f32_e32 v198, v23, v198                              // 000000005C3C: 0B8D8D17
	v_mul_f32_e32 v199, v23, v199                              // 000000005C40: 0B8F8F17
	v_mul_f32_dpp v196, v12, v196 row_newbcast:0 row_mask:0xf bank_mask:0xf// 000000005C44: 0B8988FA FF01500C
	v_mul_f32_dpp v197, v12, v197 row_newbcast:1 row_mask:0xf bank_mask:0xf// 000000005C4C: 0B8B8AFA FF01510C
	v_mul_f32_dpp v198, v12, v198 row_newbcast:2 row_mask:0xf bank_mask:0xf// 000000005C54: 0B8D8CFA FF01520C
	v_mul_f32_dpp v199, v12, v199 row_newbcast:3 row_mask:0xf bank_mask:0xf// 000000005C5C: 0B8F8EFA FF01530C
	v_mul_f32_e32 v196, v18, v196                              // 000000005C64: 0B898912
	v_mul_f32_e32 v197, v18, v197                              // 000000005C68: 0B8B8B12
	v_mul_f32_e32 v198, v18, v198                              // 000000005C6C: 0B8D8D12
	v_mul_f32_e32 v199, v18, v199                              // 000000005C70: 0B8F8F12
	v_mul_f32_e32 v200, v22, v200                              // 000000005C74: 0B919116
	v_mul_f32_e32 v201, v22, v201                              // 000000005C78: 0B939316
	v_mul_f32_e32 v202, v22, v202                              // 000000005C7C: 0B959516
	v_mul_f32_e32 v203, v22, v203                              // 000000005C80: 0B979716
	v_mul_f32_dpp v200, v12, v200 row_newbcast:4 row_mask:0xf bank_mask:0xf// 000000005C84: 0B9190FA FF01540C
	v_mul_f32_dpp v201, v12, v201 row_newbcast:5 row_mask:0xf bank_mask:0xf// 000000005C8C: 0B9392FA FF01550C
	v_mul_f32_dpp v202, v12, v202 row_newbcast:6 row_mask:0xf bank_mask:0xf// 000000005C94: 0B9594FA FF01560C
	v_mul_f32_dpp v203, v12, v203 row_newbcast:7 row_mask:0xf bank_mask:0xf// 000000005C9C: 0B9796FA FF01570C
	v_mul_f32_e32 v200, v17, v200                              // 000000005CA4: 0B919111
	v_mul_f32_e32 v201, v17, v201                              // 000000005CA8: 0B939311
	v_mul_f32_e32 v202, v17, v202                              // 000000005CAC: 0B959511
	v_mul_f32_e32 v203, v17, v203                              // 000000005CB0: 0B979711
	v_mul_f32_e32 v204, v23, v204                              // 000000005CB4: 0B999917
	v_mul_f32_e32 v205, v23, v205                              // 000000005CB8: 0B9B9B17
	v_mul_f32_e32 v206, v23, v206                              // 000000005CBC: 0B9D9D17
	v_mul_f32_e32 v207, v23, v207                              // 000000005CC0: 0B9F9F17
	v_mul_f32_dpp v204, v12, v204 row_newbcast:4 row_mask:0xf bank_mask:0xf// 000000005CC4: 0B9998FA FF01540C
	v_mul_f32_dpp v205, v12, v205 row_newbcast:5 row_mask:0xf bank_mask:0xf// 000000005CCC: 0B9B9AFA FF01550C
	v_mul_f32_dpp v206, v12, v206 row_newbcast:6 row_mask:0xf bank_mask:0xf// 000000005CD4: 0B9D9CFA FF01560C
	v_mul_f32_dpp v207, v12, v207 row_newbcast:7 row_mask:0xf bank_mask:0xf// 000000005CDC: 0B9F9EFA FF01570C
	v_mul_f32_e32 v204, v18, v204                              // 000000005CE4: 0B999912
	v_mul_f32_e32 v205, v18, v205                              // 000000005CE8: 0B9B9B12
	v_mul_f32_e32 v206, v18, v206                              // 000000005CEC: 0B9D9D12
	v_mul_f32_e32 v207, v18, v207                              // 000000005CF0: 0B9F9F12
	v_mul_f32_e32 v208, v22, v208                              // 000000005CF4: 0BA1A116
	v_mul_f32_e32 v209, v22, v209                              // 000000005CF8: 0BA3A316
	v_mul_f32_e32 v210, v22, v210                              // 000000005CFC: 0BA5A516
	v_mul_f32_e32 v211, v22, v211                              // 000000005D00: 0BA7A716
	v_mul_f32_dpp v208, v12, v208 row_newbcast:8 row_mask:0xf bank_mask:0xf// 000000005D04: 0BA1A0FA FF01580C
	v_mul_f32_dpp v209, v12, v209 row_newbcast:9 row_mask:0xf bank_mask:0xf// 000000005D0C: 0BA3A2FA FF01590C
	v_mul_f32_dpp v210, v12, v210 row_newbcast:10 row_mask:0xf bank_mask:0xf// 000000005D14: 0BA5A4FA FF015A0C
	v_mul_f32_dpp v211, v12, v211 row_newbcast:11 row_mask:0xf bank_mask:0xf// 000000005D1C: 0BA7A6FA FF015B0C
	v_mul_f32_e32 v208, v17, v208                              // 000000005D24: 0BA1A111
	v_mul_f32_e32 v209, v17, v209                              // 000000005D28: 0BA3A311
	v_mul_f32_e32 v210, v17, v210                              // 000000005D2C: 0BA5A511
	v_mul_f32_e32 v211, v17, v211                              // 000000005D30: 0BA7A711
	v_mul_f32_e32 v212, v23, v212                              // 000000005D34: 0BA9A917
	v_mul_f32_e32 v213, v23, v213                              // 000000005D38: 0BABAB17
	v_mul_f32_e32 v214, v23, v214                              // 000000005D3C: 0BADAD17
	v_mul_f32_e32 v215, v23, v215                              // 000000005D40: 0BAFAF17
	v_mul_f32_dpp v212, v12, v212 row_newbcast:8 row_mask:0xf bank_mask:0xf// 000000005D44: 0BA9A8FA FF01580C
	v_mul_f32_dpp v213, v12, v213 row_newbcast:9 row_mask:0xf bank_mask:0xf// 000000005D4C: 0BABAAFA FF01590C
	v_mul_f32_dpp v214, v12, v214 row_newbcast:10 row_mask:0xf bank_mask:0xf// 000000005D54: 0BADACFA FF015A0C
	v_mul_f32_dpp v215, v12, v215 row_newbcast:11 row_mask:0xf bank_mask:0xf// 000000005D5C: 0BAFAEFA FF015B0C
	v_mul_f32_e32 v212, v18, v212                              // 000000005D64: 0BA9A912
	v_mul_f32_e32 v213, v18, v213                              // 000000005D68: 0BABAB12
	v_mul_f32_e32 v214, v18, v214                              // 000000005D6C: 0BADAD12
	v_mul_f32_e32 v215, v18, v215                              // 000000005D70: 0BAFAF12
	v_mul_f32_e32 v216, v22, v216                              // 000000005D74: 0BB1B116
	v_mul_f32_e32 v217, v22, v217                              // 000000005D78: 0BB3B316
	v_mul_f32_e32 v218, v22, v218                              // 000000005D7C: 0BB5B516
	v_mul_f32_e32 v219, v22, v219                              // 000000005D80: 0BB7B716
	v_mul_f32_dpp v216, v12, v216 row_newbcast:12 row_mask:0xf bank_mask:0xf// 000000005D84: 0BB1B0FA FF015C0C
	v_mul_f32_dpp v217, v12, v217 row_newbcast:13 row_mask:0xf bank_mask:0xf// 000000005D8C: 0BB3B2FA FF015D0C
	v_mul_f32_dpp v218, v12, v218 row_newbcast:14 row_mask:0xf bank_mask:0xf// 000000005D94: 0BB5B4FA FF015E0C
	v_mul_f32_dpp v219, v12, v219 row_newbcast:15 row_mask:0xf bank_mask:0xf// 000000005D9C: 0BB7B6FA FF015F0C
	v_mul_f32_e32 v216, v17, v216                              // 000000005DA4: 0BB1B111
	v_mul_f32_e32 v217, v17, v217                              // 000000005DA8: 0BB3B311
	v_mul_f32_e32 v218, v17, v218                              // 000000005DAC: 0BB5B511
	v_mul_f32_e32 v219, v17, v219                              // 000000005DB0: 0BB7B711
	v_mul_f32_e32 v220, v23, v220                              // 000000005DB4: 0BB9B917
	v_mul_f32_e32 v221, v23, v221                              // 000000005DB8: 0BBBBB17
	v_mul_f32_e32 v222, v23, v222                              // 000000005DBC: 0BBDBD17
	v_mul_f32_e32 v223, v23, v223                              // 000000005DC0: 0BBFBF17
	v_mul_f32_dpp v220, v12, v220 row_newbcast:12 row_mask:0xf bank_mask:0xf// 000000005DC4: 0BB9B8FA FF015C0C
	v_mul_f32_dpp v221, v12, v221 row_newbcast:13 row_mask:0xf bank_mask:0xf// 000000005DCC: 0BBBBAFA FF015D0C
	v_mul_f32_dpp v222, v12, v222 row_newbcast:14 row_mask:0xf bank_mask:0xf// 000000005DD4: 0BBDBCFA FF015E0C
	v_mul_f32_dpp v223, v12, v223 row_newbcast:15 row_mask:0xf bank_mask:0xf// 000000005DDC: 0BBFBEFA FF015F0C
	v_mul_f32_e32 v220, v18, v220                              // 000000005DE4: 0BB9B912
	v_mul_f32_e32 v221, v18, v221                              // 000000005DE8: 0BBBBB12
	v_mul_f32_e32 v222, v18, v222                              // 000000005DEC: 0BBDBD12
	v_mul_f32_e32 v223, v18, v223                              // 000000005DF0: 0BBFBF12
	v_cmp_u_f32_e64 s[48:49], v192, v192                       // 000000005DF4: D0480030 000381C0
	v_add3_u32 v40, v192, v43, 1                               // 000000005DFC: D1FF0028 020657C0
	v_cndmask_b32_e64 v46, v40, v42, s[48:49]                  // 000000005E04: D100002E 00C25528
	v_cmp_u_f32_e64 s[48:49], v193, v193                       // 000000005E0C: D0480030 000383C1
	v_add3_u32 v40, v193, v43, 1                               // 000000005E14: D1FF0028 020657C1
	v_cndmask_b32_e64 v47, v40, v42, s[48:49]                  // 000000005E1C: D100002F 00C25528
	v_perm_b32 v192, v47, v46, s52                             // 000000005E24: D1ED00C0 00D25D2F
	v_cmp_u_f32_e64 s[48:49], v194, v194                       // 000000005E2C: D0480030 000385C2
	v_add3_u32 v40, v194, v43, 1                               // 000000005E34: D1FF0028 020657C2
	v_cndmask_b32_e64 v46, v40, v42, s[48:49]                  // 000000005E3C: D100002E 00C25528
	v_cmp_u_f32_e64 s[48:49], v195, v195                       // 000000005E44: D0480030 000387C3
	v_add3_u32 v40, v195, v43, 1                               // 000000005E4C: D1FF0028 020657C3
	v_cndmask_b32_e64 v47, v40, v42, s[48:49]                  // 000000005E54: D100002F 00C25528
	v_perm_b32 v193, v47, v46, s52                             // 000000005E5C: D1ED00C1 00D25D2F
	v_cmp_u_f32_e64 s[48:49], v196, v196                       // 000000005E64: D0480030 000389C4
	v_add3_u32 v40, v196, v43, 1                               // 000000005E6C: D1FF0028 020657C4
	v_cndmask_b32_e64 v46, v40, v42, s[48:49]                  // 000000005E74: D100002E 00C25528
	v_cmp_u_f32_e64 s[48:49], v197, v197                       // 000000005E7C: D0480030 00038BC5
	v_add3_u32 v40, v197, v43, 1                               // 000000005E84: D1FF0028 020657C5
	v_cndmask_b32_e64 v47, v40, v42, s[48:49]                  // 000000005E8C: D100002F 00C25528
	v_perm_b32 v194, v47, v46, s52                             // 000000005E94: D1ED00C2 00D25D2F
	v_cmp_u_f32_e64 s[48:49], v198, v198                       // 000000005E9C: D0480030 00038DC6
	v_add3_u32 v40, v198, v43, 1                               // 000000005EA4: D1FF0028 020657C6
	v_cndmask_b32_e64 v46, v40, v42, s[48:49]                  // 000000005EAC: D100002E 00C25528
	v_cmp_u_f32_e64 s[48:49], v199, v199                       // 000000005EB4: D0480030 00038FC7
	v_add3_u32 v40, v199, v43, 1                               // 000000005EBC: D1FF0028 020657C7
	v_cndmask_b32_e64 v47, v40, v42, s[48:49]                  // 000000005EC4: D100002F 00C25528
	v_perm_b32 v195, v47, v46, s52                             // 000000005ECC: D1ED00C3 00D25D2F
	v_cmp_u_f32_e64 s[48:49], v200, v200                       // 000000005ED4: D0480030 000391C8
	v_add3_u32 v40, v200, v43, 1                               // 000000005EDC: D1FF0028 020657C8
	v_cndmask_b32_e64 v46, v40, v42, s[48:49]                  // 000000005EE4: D100002E 00C25528
	v_cmp_u_f32_e64 s[48:49], v201, v201                       // 000000005EEC: D0480030 000393C9
	v_add3_u32 v40, v201, v43, 1                               // 000000005EF4: D1FF0028 020657C9
	v_cndmask_b32_e64 v47, v40, v42, s[48:49]                  // 000000005EFC: D100002F 00C25528
	v_perm_b32 v196, v47, v46, s52                             // 000000005F04: D1ED00C4 00D25D2F
	v_cmp_u_f32_e64 s[48:49], v202, v202                       // 000000005F0C: D0480030 000395CA
	v_add3_u32 v40, v202, v43, 1                               // 000000005F14: D1FF0028 020657CA
	v_cndmask_b32_e64 v46, v40, v42, s[48:49]                  // 000000005F1C: D100002E 00C25528
	v_cmp_u_f32_e64 s[48:49], v203, v203                       // 000000005F24: D0480030 000397CB
	v_add3_u32 v40, v203, v43, 1                               // 000000005F2C: D1FF0028 020657CB
	v_cndmask_b32_e64 v47, v40, v42, s[48:49]                  // 000000005F34: D100002F 00C25528
	v_perm_b32 v197, v47, v46, s52                             // 000000005F3C: D1ED00C5 00D25D2F
	v_cmp_u_f32_e64 s[48:49], v204, v204                       // 000000005F44: D0480030 000399CC
	v_add3_u32 v40, v204, v43, 1                               // 000000005F4C: D1FF0028 020657CC
	v_cndmask_b32_e64 v46, v40, v42, s[48:49]                  // 000000005F54: D100002E 00C25528
	v_cmp_u_f32_e64 s[48:49], v205, v205                       // 000000005F5C: D0480030 00039BCD
	v_add3_u32 v40, v205, v43, 1                               // 000000005F64: D1FF0028 020657CD
	v_cndmask_b32_e64 v47, v40, v42, s[48:49]                  // 000000005F6C: D100002F 00C25528
	v_perm_b32 v198, v47, v46, s52                             // 000000005F74: D1ED00C6 00D25D2F
	v_cmp_u_f32_e64 s[48:49], v206, v206                       // 000000005F7C: D0480030 00039DCE
	v_add3_u32 v40, v206, v43, 1                               // 000000005F84: D1FF0028 020657CE
	v_cndmask_b32_e64 v46, v40, v42, s[48:49]                  // 000000005F8C: D100002E 00C25528
	v_cmp_u_f32_e64 s[48:49], v207, v207                       // 000000005F94: D0480030 00039FCF
	v_add3_u32 v40, v207, v43, 1                               // 000000005F9C: D1FF0028 020657CF
	v_cndmask_b32_e64 v47, v40, v42, s[48:49]                  // 000000005FA4: D100002F 00C25528
	v_perm_b32 v199, v47, v46, s52                             // 000000005FAC: D1ED00C7 00D25D2F
	v_cmp_u_f32_e64 s[48:49], v208, v208                       // 000000005FB4: D0480030 0003A1D0
	v_add3_u32 v40, v208, v43, 1                               // 000000005FBC: D1FF0028 020657D0
	v_cndmask_b32_e64 v46, v40, v42, s[48:49]                  // 000000005FC4: D100002E 00C25528
	v_cmp_u_f32_e64 s[48:49], v209, v209                       // 000000005FCC: D0480030 0003A3D1
	v_add3_u32 v40, v209, v43, 1                               // 000000005FD4: D1FF0028 020657D1
	v_cndmask_b32_e64 v47, v40, v42, s[48:49]                  // 000000005FDC: D100002F 00C25528
	v_perm_b32 v200, v47, v46, s52                             // 000000005FE4: D1ED00C8 00D25D2F
	v_cmp_u_f32_e64 s[48:49], v210, v210                       // 000000005FEC: D0480030 0003A5D2
	v_add3_u32 v40, v210, v43, 1                               // 000000005FF4: D1FF0028 020657D2
	v_cndmask_b32_e64 v46, v40, v42, s[48:49]                  // 000000005FFC: D100002E 00C25528
	v_cmp_u_f32_e64 s[48:49], v211, v211                       // 000000006004: D0480030 0003A7D3
	v_add3_u32 v40, v211, v43, 1                               // 00000000600C: D1FF0028 020657D3
	v_cndmask_b32_e64 v47, v40, v42, s[48:49]                  // 000000006014: D100002F 00C25528
	v_perm_b32 v201, v47, v46, s52                             // 00000000601C: D1ED00C9 00D25D2F
	v_cmp_u_f32_e64 s[48:49], v212, v212                       // 000000006024: D0480030 0003A9D4
	v_add3_u32 v40, v212, v43, 1                               // 00000000602C: D1FF0028 020657D4
	v_cndmask_b32_e64 v46, v40, v42, s[48:49]                  // 000000006034: D100002E 00C25528
	v_cmp_u_f32_e64 s[48:49], v213, v213                       // 00000000603C: D0480030 0003ABD5
	v_add3_u32 v40, v213, v43, 1                               // 000000006044: D1FF0028 020657D5
	v_cndmask_b32_e64 v47, v40, v42, s[48:49]                  // 00000000604C: D100002F 00C25528
	v_perm_b32 v202, v47, v46, s52                             // 000000006054: D1ED00CA 00D25D2F
	v_cmp_u_f32_e64 s[48:49], v214, v214                       // 00000000605C: D0480030 0003ADD6
	v_add3_u32 v40, v214, v43, 1                               // 000000006064: D1FF0028 020657D6
	v_cndmask_b32_e64 v46, v40, v42, s[48:49]                  // 00000000606C: D100002E 00C25528
	v_cmp_u_f32_e64 s[48:49], v215, v215                       // 000000006074: D0480030 0003AFD7
	v_add3_u32 v40, v215, v43, 1                               // 00000000607C: D1FF0028 020657D7
	v_cndmask_b32_e64 v47, v40, v42, s[48:49]                  // 000000006084: D100002F 00C25528
	v_perm_b32 v203, v47, v46, s52                             // 00000000608C: D1ED00CB 00D25D2F
	v_cmp_u_f32_e64 s[48:49], v216, v216                       // 000000006094: D0480030 0003B1D8
	v_add3_u32 v40, v216, v43, 1                               // 00000000609C: D1FF0028 020657D8
	v_cndmask_b32_e64 v46, v40, v42, s[48:49]                  // 0000000060A4: D100002E 00C25528
	v_cmp_u_f32_e64 s[48:49], v217, v217                       // 0000000060AC: D0480030 0003B3D9
	v_add3_u32 v40, v217, v43, 1                               // 0000000060B4: D1FF0028 020657D9
	v_cndmask_b32_e64 v47, v40, v42, s[48:49]                  // 0000000060BC: D100002F 00C25528
	v_perm_b32 v204, v47, v46, s52                             // 0000000060C4: D1ED00CC 00D25D2F
	v_cmp_u_f32_e64 s[48:49], v218, v218                       // 0000000060CC: D0480030 0003B5DA
	v_add3_u32 v40, v218, v43, 1                               // 0000000060D4: D1FF0028 020657DA
	v_cndmask_b32_e64 v46, v40, v42, s[48:49]                  // 0000000060DC: D100002E 00C25528
	v_cmp_u_f32_e64 s[48:49], v219, v219                       // 0000000060E4: D0480030 0003B7DB
	v_add3_u32 v40, v219, v43, 1                               // 0000000060EC: D1FF0028 020657DB
	v_cndmask_b32_e64 v47, v40, v42, s[48:49]                  // 0000000060F4: D100002F 00C25528
	v_perm_b32 v205, v47, v46, s52                             // 0000000060FC: D1ED00CD 00D25D2F
	v_cmp_u_f32_e64 s[48:49], v220, v220                       // 000000006104: D0480030 0003B9DC
	v_add3_u32 v40, v220, v43, 1                               // 00000000610C: D1FF0028 020657DC
	v_cndmask_b32_e64 v46, v40, v42, s[48:49]                  // 000000006114: D100002E 00C25528
	v_cmp_u_f32_e64 s[48:49], v221, v221                       // 00000000611C: D0480030 0003BBDD
	v_add3_u32 v40, v221, v43, 1                               // 000000006124: D1FF0028 020657DD
	v_cndmask_b32_e64 v47, v40, v42, s[48:49]                  // 00000000612C: D100002F 00C25528
	v_perm_b32 v206, v47, v46, s52                             // 000000006134: D1ED00CE 00D25D2F
	v_cmp_u_f32_e64 s[48:49], v222, v222                       // 00000000613C: D0480030 0003BDDE
	v_add3_u32 v40, v222, v43, 1                               // 000000006144: D1FF0028 020657DE
	v_cndmask_b32_e64 v46, v40, v42, s[48:49]                  // 00000000614C: D100002E 00C25528
	v_cmp_u_f32_e64 s[48:49], v223, v223                       // 000000006154: D0480030 0003BFDF
	v_add3_u32 v40, v223, v43, 1                               // 00000000615C: D1FF0028 020657DF
	v_cndmask_b32_e64 v47, v40, v42, s[48:49]                  // 000000006164: D100002F 00C25528
	v_perm_b32 v207, v47, v46, s52                             // 00000000616C: D1ED00CF 00D25D2F
	ds_write_b64 v3, v[192:193] offset:26880                   // 000000006174: D89A6900 0000C003
	ds_write_b64 v3, v[194:195] offset:35584                   // 00000000617C: D89A8B00 0000C203
	ds_write_b64 v3, v[196:197] offset:29056                   // 000000006184: D89A7180 0000C403
	ds_write_b64 v3, v[198:199] offset:37760                   // 00000000618C: D89A9380 0000C603
	ds_write_b64 v3, v[200:201] offset:31232                   // 000000006194: D89A7A00 0000C803
	ds_write_b64 v3, v[202:203] offset:39936                   // 00000000619C: D89A9C00 0000CA03
	ds_write_b64 v3, v[204:205] offset:33408                   // 0000000061A4: D89A8280 0000CC03
	ds_write_b64 v3, v[206:207] offset:42112                   // 0000000061AC: D89AA480 0000CE03
	s_waitcnt lgkmcnt(0)                                       // 0000000061B4: BF8CC07F
	s_barrier                                                  // 0000000061B8: BF8A0000
	ds_read_b32 v64, v4 offset:26880                           // 0000000061BC: D86C6900 40000004
	ds_read_b32 v65, v4 offset:31232                           // 0000000061C4: D86C7A00 41000004
	ds_read_b32 v66, v4 offset:26912                           // 0000000061CC: D86C6920 42000004
	ds_read_b32 v67, v4 offset:31264                           // 0000000061D4: D86C7A20 43000004
	ds_read_b32 v68, v4 offset:26944                           // 0000000061DC: D86C6940 44000004
	ds_read_b32 v69, v4 offset:31296                           // 0000000061E4: D86C7A40 45000004
	ds_read_b32 v70, v4 offset:26976                           // 0000000061EC: D86C6960 46000004
	ds_read_b32 v71, v4 offset:31328                           // 0000000061F4: D86C7A60 47000004
	ds_read_b32 v72, v4 offset:35584                           // 0000000061FC: D86C8B00 48000004
	ds_read_b32 v73, v4 offset:39936                           // 000000006204: D86C9C00 49000004
	ds_read_b32 v74, v4 offset:35616                           // 00000000620C: D86C8B20 4A000004
	ds_read_b32 v75, v4 offset:39968                           // 000000006214: D86C9C20 4B000004
	ds_read_b32 v76, v4 offset:35648                           // 00000000621C: D86C8B40 4C000004
	ds_read_b32 v77, v4 offset:40000                           // 000000006224: D86C9C40 4D000004
	ds_read_b32 v78, v4 offset:35680                           // 00000000622C: D86C8B60 4E000004
	ds_read_b32 v79, v4 offset:40032                           // 000000006234: D86C9C60 4F000004
	s_waitcnt lgkmcnt(0)                                       // 00000000623C: BF8CC07F
	s_mov_b64 exec, s[20:21]                                   // 000000006240: BEFE0114
	global_atomic_pk_add_bf16 v80, v64, s[8:9]                 // 000000006244: DD488000 00084050
	s_mov_b64 exec, s[36:37]                                   // 00000000624C: BEFE0124
	s_mov_b64 exec, s[20:21]                                   // 000000006250: BEFE0114
	global_atomic_pk_add_bf16 v80, v65, s[8:9] offset:256      // 000000006254: DD488100 00084150
	s_mov_b64 exec, s[36:37]                                   // 00000000625C: BEFE0124
	s_mov_b64 exec, s[22:23]                                   // 000000006260: BEFE0116
	global_atomic_pk_add_bf16 v82, v66, s[8:9]                 // 000000006264: DD488000 00084252
	s_mov_b64 exec, s[36:37]                                   // 00000000626C: BEFE0124
	s_mov_b64 exec, s[22:23]                                   // 000000006270: BEFE0116
	global_atomic_pk_add_bf16 v82, v67, s[8:9] offset:256      // 000000006274: DD488100 00084352
	s_mov_b64 exec, s[36:37]                                   // 00000000627C: BEFE0124
	s_mov_b64 exec, s[24:25]                                   // 000000006280: BEFE0118
	global_atomic_pk_add_bf16 v84, v68, s[8:9]                 // 000000006284: DD488000 00084454
	s_mov_b64 exec, s[36:37]                                   // 00000000628C: BEFE0124
	s_mov_b64 exec, s[24:25]                                   // 000000006290: BEFE0118
	global_atomic_pk_add_bf16 v84, v69, s[8:9] offset:256      // 000000006294: DD488100 00084554
	s_mov_b64 exec, s[36:37]                                   // 00000000629C: BEFE0124
	s_mov_b64 exec, s[26:27]                                   // 0000000062A0: BEFE011A
	global_atomic_pk_add_bf16 v86, v70, s[8:9]                 // 0000000062A4: DD488000 00084656
	s_mov_b64 exec, s[36:37]                                   // 0000000062AC: BEFE0124
	s_mov_b64 exec, s[26:27]                                   // 0000000062B0: BEFE011A
	global_atomic_pk_add_bf16 v86, v71, s[8:9] offset:256      // 0000000062B4: DD488100 00084756
	s_mov_b64 exec, s[36:37]                                   // 0000000062BC: BEFE0124
	s_mov_b64 exec, s[28:29]                                   // 0000000062C0: BEFE011C
	global_atomic_pk_add_bf16 v88, v72, s[8:9]                 // 0000000062C4: DD488000 00084858
	s_mov_b64 exec, s[36:37]                                   // 0000000062CC: BEFE0124
	s_mov_b64 exec, s[28:29]                                   // 0000000062D0: BEFE011C
	global_atomic_pk_add_bf16 v88, v73, s[8:9] offset:256      // 0000000062D4: DD488100 00084958
	s_mov_b64 exec, s[36:37]                                   // 0000000062DC: BEFE0124
	s_mov_b64 exec, s[30:31]                                   // 0000000062E0: BEFE011E
	global_atomic_pk_add_bf16 v90, v74, s[8:9]                 // 0000000062E4: DD488000 00084A5A
	s_mov_b64 exec, s[36:37]                                   // 0000000062EC: BEFE0124
	s_mov_b64 exec, s[30:31]                                   // 0000000062F0: BEFE011E
	global_atomic_pk_add_bf16 v90, v75, s[8:9] offset:256      // 0000000062F4: DD488100 00084B5A
	s_mov_b64 exec, s[36:37]                                   // 0000000062FC: BEFE0124
	s_mov_b64 exec, s[32:33]                                   // 000000006300: BEFE0120
	global_atomic_pk_add_bf16 v92, v76, s[8:9]                 // 000000006304: DD488000 00084C5C
	s_mov_b64 exec, s[36:37]                                   // 00000000630C: BEFE0124
	s_mov_b64 exec, s[32:33]                                   // 000000006310: BEFE0120
	global_atomic_pk_add_bf16 v92, v77, s[8:9] offset:256      // 000000006314: DD488100 00084D5C
	s_mov_b64 exec, s[36:37]                                   // 00000000631C: BEFE0124
	s_mov_b64 exec, s[34:35]                                   // 000000006320: BEFE0122
	global_atomic_pk_add_bf16 v94, v78, s[8:9]                 // 000000006324: DD488000 00084E5E
	s_mov_b64 exec, s[36:37]                                   // 00000000632C: BEFE0124
	s_mov_b64 exec, s[34:35]                                   // 000000006330: BEFE0122
	global_atomic_pk_add_bf16 v94, v79, s[8:9] offset:256      // 000000006334: DD488100 00084F5E
	s_mov_b64 exec, s[36:37]                                   // 00000000633C: BEFE0124
	s_add_u32 s8, s59, s8                                      // 000000006340: 8008083B
	s_addc_u32 s9, 0, s9                                       // 000000006344: 82090980
	s_addk_i32 s80, 0x100                                      // 000000006348: B7500100
	s_cmp_lt_i32 s80, s81                                      // 00000000634C: BF045150
	s_cbranch_scc0 label_0E16                                  // 000000006350: BF840001
	s_branch label_08F7                                        // 000000006354: BF82FAE1

0000000000006358 <label_0E16>:
	s_nop 0                                                    // 000000006358: BF800000
	s_nop 0                                                    // 00000000635C: BF800000
	s_branch label_19EB                                        // 000000006360: BF820BD2

0000000000006364 <label_0E19>:
	s_waitcnt vmcnt(8) lgkmcnt(0)                              // 000000006364: BF8C0078
	s_barrier                                                  // 000000006368: BF8A0000
	v_mfma_f32_16x16x32_fp8_fp8 v[128:131], a[0:1], v[160:161], v[128:131]// 00000000636C: D3F30080 0E034100
	buffer_load_dwordx4 a[64:67], v32, s[92:95], 0 offen       // 000000006374: E05C1000 80974020
	v_mfma_f32_16x16x32_fp8_fp8 v[128:131], a[2:3], v[162:163], v[128:131]// 00000000637C: D3F30080 0E034502
	v_mfma_f32_16x16x32_fp8_fp8 v[128:131], a[4:5], v[164:165], v[128:131]// 000000006384: D3F30080 0E034904
	buffer_load_dword v24, s[20:23], 0 offen lds               // 00000000638C: E0511000 80050018
	s_add_u32 m0, 0x100, s51                                   // 000000006394: 807C33FF 00000100
	v_mfma_f32_16x16x32_fp8_fp8 v[128:131], a[6:7], v[166:167], v[128:131]// 00000000639C: D3F30080 0E034D06
	v_mfma_f32_16x16x32_fp8_fp8 v[128:131], a[8:9], v[168:169], v[128:131]// 0000000063A4: D3F30080 0E035108
	buffer_load_dwordx4 a[68:71], v32, s[92:95], 0 offen offset:1024// 0000000063AC: E05C1400 80974420
	v_mfma_f32_16x16x32_fp8_fp8 v[128:131], a[10:11], v[170:171], v[128:131]// 0000000063B4: D3F30080 0E03550A
	v_mfma_f32_16x16x32_fp8_fp8 v[128:131], a[12:13], v[172:173], v[128:131]// 0000000063BC: D3F30080 0E03590C
	buffer_load_dword v25, s[20:23], 0 offen lds               // 0000000063C4: E0511000 80050019
	s_add_u32 m0, 0x200, s51                                   // 0000000063CC: 807C33FF 00000200
	v_mfma_f32_16x16x32_fp8_fp8 v[128:131], a[14:15], v[174:175], v[128:131]// 0000000063D4: D3F30080 0E035D0E
	v_mfma_f32_16x16x32_fp8_fp8 v[132:135], a[0:1], v[176:177], v[132:135]// 0000000063DC: D3F30084 0E136100
	buffer_load_dwordx4 a[72:75], v32, s[92:95], 0 offen offset:2048// 0000000063E4: E05C1800 80974820
	v_mfma_f32_16x16x32_fp8_fp8 v[132:135], a[2:3], v[178:179], v[132:135]// 0000000063EC: D3F30084 0E136502
	v_mfma_f32_16x16x32_fp8_fp8 v[132:135], a[4:5], v[180:181], v[132:135]// 0000000063F4: D3F30084 0E136904
	buffer_load_dword v26, s[20:23], 0 offen lds               // 0000000063FC: E0511000 8005001A
	s_add_u32 m0, 0x300, s51                                   // 000000006404: 807C33FF 00000300
	v_mfma_f32_16x16x32_fp8_fp8 v[132:135], a[6:7], v[182:183], v[132:135]// 00000000640C: D3F30084 0E136D06
	v_mfma_f32_16x16x32_fp8_fp8 v[132:135], a[8:9], v[184:185], v[132:135]// 000000006414: D3F30084 0E137108
	buffer_load_dwordx4 a[76:79], v32, s[92:95], 0 offen offset:3072// 00000000641C: E05C1C00 80974C20
	v_mfma_f32_16x16x32_fp8_fp8 v[132:135], a[10:11], v[186:187], v[132:135]// 000000006424: D3F30084 0E13750A
	v_mfma_f32_16x16x32_fp8_fp8 v[132:135], a[12:13], v[188:189], v[132:135]// 00000000642C: D3F30084 0E13790C
	buffer_load_dword v27, s[20:23], 0 offen lds               // 000000006434: E0511000 8005001B
	s_add_u32 m0, 0x400, s51                                   // 00000000643C: 807C33FF 00000400
	v_mfma_f32_16x16x32_fp8_fp8 v[132:135], a[14:15], v[190:191], v[132:135]// 000000006444: D3F30084 0E137D0E
	v_mfma_f32_16x16x32_fp8_fp8 v[136:139], a[16:17], v[160:161], v[136:139]// 00000000644C: D3F30088 0E234110
	buffer_load_dwordx4 a[80:83], v33, s[92:95], 0 offen       // 000000006454: E05C1000 80975021
	v_mfma_f32_16x16x32_fp8_fp8 v[136:139], a[18:19], v[162:163], v[136:139]// 00000000645C: D3F30088 0E234512
	v_mfma_f32_16x16x32_fp8_fp8 v[136:139], a[20:21], v[164:165], v[136:139]// 000000006464: D3F30088 0E234914
	buffer_load_dword v28, s[20:23], 0 offen lds               // 00000000646C: E0511000 8005001C
	s_add_u32 m0, 0x500, s51                                   // 000000006474: 807C33FF 00000500
	v_mfma_f32_16x16x32_fp8_fp8 v[136:139], a[22:23], v[166:167], v[136:139]// 00000000647C: D3F30088 0E234D16
	v_mfma_f32_16x16x32_fp8_fp8 v[136:139], a[24:25], v[168:169], v[136:139]// 000000006484: D3F30088 0E235118
	buffer_load_dwordx4 a[84:87], v33, s[92:95], 0 offen offset:1024// 00000000648C: E05C1400 80975421
	v_mfma_f32_16x16x32_fp8_fp8 v[136:139], a[26:27], v[170:171], v[136:139]// 000000006494: D3F30088 0E23551A
	v_mfma_f32_16x16x32_fp8_fp8 v[136:139], a[28:29], v[172:173], v[136:139]// 00000000649C: D3F30088 0E23591C
	buffer_load_dword v29, s[20:23], 0 offen lds               // 0000000064A4: E0511000 8005001D
	s_add_u32 m0, 0x600, s51                                   // 0000000064AC: 807C33FF 00000600
	v_mfma_f32_16x16x32_fp8_fp8 v[136:139], a[30:31], v[174:175], v[136:139]// 0000000064B4: D3F30088 0E235D1E
	v_mfma_f32_16x16x32_fp8_fp8 v[140:143], a[16:17], v[176:177], v[140:143]// 0000000064BC: D3F3008C 0E336110
	buffer_load_dwordx4 a[88:91], v33, s[92:95], 0 offen offset:2048// 0000000064C4: E05C1800 80975821
	v_mfma_f32_16x16x32_fp8_fp8 v[140:143], a[18:19], v[178:179], v[140:143]// 0000000064CC: D3F3008C 0E336512
	v_mfma_f32_16x16x32_fp8_fp8 v[140:143], a[20:21], v[180:181], v[140:143]// 0000000064D4: D3F3008C 0E336914
	buffer_load_dword v30, s[20:23], 0 offen lds               // 0000000064DC: E0511000 8005001E
	s_add_u32 m0, 0x700, s51                                   // 0000000064E4: 807C33FF 00000700
	v_mfma_f32_16x16x32_fp8_fp8 v[140:143], a[22:23], v[182:183], v[140:143]// 0000000064EC: D3F3008C 0E336D16
	v_mfma_f32_16x16x32_fp8_fp8 v[140:143], a[24:25], v[184:185], v[140:143]// 0000000064F4: D3F3008C 0E337118
	buffer_load_dwordx4 a[92:95], v33, s[92:95], 0 offen offset:3072// 0000000064FC: E05C1C00 80975C21
	v_mfma_f32_16x16x32_fp8_fp8 v[140:143], a[26:27], v[186:187], v[140:143]// 000000006504: D3F3008C 0E33751A
	v_mfma_f32_16x16x32_fp8_fp8 v[140:143], a[28:29], v[188:189], v[140:143]// 00000000650C: D3F3008C 0E33791C
	buffer_load_dword v31, s[20:23], 0 offen lds               // 000000006514: E0511000 8005001F
	s_add_u32 m0, 0, s50                                       // 00000000651C: 807C3280
	v_mfma_f32_16x16x32_fp8_fp8 v[140:143], a[30:31], v[190:191], v[140:143]// 000000006520: D3F3008C 0E337D1E
	s_waitcnt vmcnt(20)                                        // 000000006528: BF8C4F74
	v_mfma_f32_16x16x32_fp8_fp8 v[144:147], a[32:33], v[160:161], v[144:147]// 00000000652C: D3F30090 0E434120
	buffer_load_dwordx4 a[96:99], v34, s[92:95], 0 offen       // 000000006534: E05C1000 80976022
	v_mfma_f32_16x16x32_fp8_fp8 v[144:147], a[34:35], v[162:163], v[144:147]// 00000000653C: D3F30090 0E434522
	v_mfma_f32_16x16x32_fp8_fp8 v[144:147], a[36:37], v[164:165], v[144:147]// 000000006544: D3F30090 0E434924
	v_mfma_f32_16x16x32_fp8_fp8 v[144:147], a[38:39], v[166:167], v[144:147]// 00000000654C: D3F30090 0E434D26
	v_mfma_f32_16x16x32_fp8_fp8 v[144:147], a[40:41], v[168:169], v[144:147]// 000000006554: D3F30090 0E435128
	buffer_load_dwordx4 a[100:103], v34, s[92:95], 0 offen offset:1024// 00000000655C: E05C1400 80976422
	v_mfma_f32_16x16x32_fp8_fp8 v[144:147], a[42:43], v[170:171], v[144:147]// 000000006564: D3F30090 0E43552A
	v_mfma_f32_16x16x32_fp8_fp8 v[144:147], a[44:45], v[172:173], v[144:147]// 00000000656C: D3F30090 0E43592C
	v_mfma_f32_16x16x32_fp8_fp8 v[144:147], a[46:47], v[174:175], v[144:147]// 000000006574: D3F30090 0E435D2E
	v_mfma_f32_16x16x32_fp8_fp8 v[148:151], a[32:33], v[176:177], v[148:151]// 00000000657C: D3F30094 0E536120
	buffer_load_dwordx4 a[104:107], v34, s[92:95], 0 offen offset:2048// 000000006584: E05C1800 80976822
	v_mfma_f32_16x16x32_fp8_fp8 v[148:151], a[34:35], v[178:179], v[148:151]// 00000000658C: D3F30094 0E536522
	v_mfma_f32_16x16x32_fp8_fp8 v[148:151], a[36:37], v[180:181], v[148:151]// 000000006594: D3F30094 0E536924
	v_mfma_f32_16x16x32_fp8_fp8 v[148:151], a[38:39], v[182:183], v[148:151]// 00000000659C: D3F30094 0E536D26
	v_mfma_f32_16x16x32_fp8_fp8 v[148:151], a[40:41], v[184:185], v[148:151]// 0000000065A4: D3F30094 0E537128
	buffer_load_dwordx4 a[108:111], v34, s[92:95], 0 offen offset:3072// 0000000065AC: E05C1C00 80976C22
	v_mfma_f32_16x16x32_fp8_fp8 v[148:151], a[42:43], v[186:187], v[148:151]// 0000000065B4: D3F30094 0E53752A
	v_mfma_f32_16x16x32_fp8_fp8 v[148:151], a[44:45], v[188:189], v[148:151]// 0000000065BC: D3F30094 0E53792C
	v_mfma_f32_16x16x32_fp8_fp8 v[148:151], a[46:47], v[190:191], v[148:151]// 0000000065C4: D3F30094 0E537D2E
	s_waitcnt vmcnt(20)                                        // 0000000065CC: BF8C4F74
	v_mfma_f32_16x16x32_fp8_fp8 v[152:155], a[48:49], v[160:161], v[152:155]// 0000000065D0: D3F30098 0E634130
	buffer_load_dwordx4 a[112:115], v35, s[92:95], 0 offen     // 0000000065D8: E05C1000 80977023
	v_mfma_f32_16x16x32_fp8_fp8 v[152:155], a[50:51], v[162:163], v[152:155]// 0000000065E0: D3F30098 0E634532
	v_mfma_f32_16x16x32_fp8_fp8 v[152:155], a[52:53], v[164:165], v[152:155]// 0000000065E8: D3F30098 0E634934
	v_mfma_f32_16x16x32_fp8_fp8 v[152:155], a[54:55], v[166:167], v[152:155]// 0000000065F0: D3F30098 0E634D36
	v_mfma_f32_16x16x32_fp8_fp8 v[152:155], a[56:57], v[168:169], v[152:155]// 0000000065F8: D3F30098 0E635138
	buffer_load_dwordx4 a[116:119], v35, s[92:95], 0 offen offset:1024// 000000006600: E05C1400 80977423
	v_mfma_f32_16x16x32_fp8_fp8 v[152:155], a[58:59], v[170:171], v[152:155]// 000000006608: D3F30098 0E63553A
	v_mfma_f32_16x16x32_fp8_fp8 v[152:155], a[60:61], v[172:173], v[152:155]// 000000006610: D3F30098 0E63593C
	v_mfma_f32_16x16x32_fp8_fp8 v[152:155], a[62:63], v[174:175], v[152:155]// 000000006618: D3F30098 0E635D3E
	v_mfma_f32_16x16x32_fp8_fp8 v[156:159], a[48:49], v[176:177], v[156:159]// 000000006620: D3F3009C 0E736130
	buffer_load_dwordx4 a[120:123], v35, s[92:95], 0 offen offset:2048// 000000006628: E05C1800 80977823
	v_mfma_f32_16x16x32_fp8_fp8 v[156:159], a[50:51], v[178:179], v[156:159]// 000000006630: D3F3009C 0E736532
	v_mfma_f32_16x16x32_fp8_fp8 v[156:159], a[52:53], v[180:181], v[156:159]// 000000006638: D3F3009C 0E736934
	v_mfma_f32_16x16x32_fp8_fp8 v[156:159], a[54:55], v[182:183], v[156:159]// 000000006640: D3F3009C 0E736D36
	v_mfma_f32_16x16x32_fp8_fp8 v[156:159], a[56:57], v[184:185], v[156:159]// 000000006648: D3F3009C 0E737138
	buffer_load_dwordx4 a[124:127], v35, s[92:95], 0 offen offset:3072// 000000006650: E05C1C00 80977C23
	v_mfma_f32_16x16x32_fp8_fp8 v[156:159], a[58:59], v[186:187], v[156:159]// 000000006658: D3F3009C 0E73753A
	v_mfma_f32_16x16x32_fp8_fp8 v[156:159], a[60:61], v[188:189], v[156:159]// 000000006660: D3F3009C 0E73793C
	v_mfma_f32_16x16x32_fp8_fp8 v[156:159], a[62:63], v[190:191], v[156:159]// 000000006668: D3F3009C 0E737D3E
	s_waitcnt vmcnt(8)                                         // 000000006670: BF8C0F78
	s_barrier                                                  // 000000006674: BF8A0000
	v_mfma_f32_16x16x32_fp8_fp8 v[64:67], a[64:65], v[160:161], v[64:67]// 000000006678: D3F30040 0D034140
	buffer_load_dwordx4 a[0:3], v32, s[24:27], 0 offen         // 000000006680: E05C1000 80860020
	v_mfma_f32_16x16x32_fp8_fp8 v[64:67], a[66:67], v[162:163], v[64:67]// 000000006688: D3F30040 0D034542
	v_mfma_f32_16x16x32_fp8_fp8 v[64:67], a[68:69], v[164:165], v[64:67]// 000000006690: D3F30040 0D034944
	v_mfma_f32_16x16x32_fp8_fp8 v[64:67], a[70:71], v[166:167], v[64:67]// 000000006698: D3F30040 0D034D46
	v_mfma_f32_16x16x32_fp8_fp8 v[64:67], a[72:73], v[168:169], v[64:67]// 0000000066A0: D3F30040 0D035148
	buffer_load_dwordx4 a[4:7], v32, s[24:27], 0 offen offset:1024// 0000000066A8: E05C1400 80860420
	v_mfma_f32_16x16x32_fp8_fp8 v[64:67], a[74:75], v[170:171], v[64:67]// 0000000066B0: D3F30040 0D03554A
	v_mfma_f32_16x16x32_fp8_fp8 v[64:67], a[76:77], v[172:173], v[64:67]// 0000000066B8: D3F30040 0D03594C
	v_mfma_f32_16x16x32_fp8_fp8 v[64:67], a[78:79], v[174:175], v[64:67]// 0000000066C0: D3F30040 0D035D4E
	v_mfma_f32_16x16x32_fp8_fp8 v[68:71], a[64:65], v[176:177], v[68:71]// 0000000066C8: D3F30044 0D136140
	buffer_load_dwordx4 a[8:11], v32, s[24:27], 0 offen offset:2048// 0000000066D0: E05C1800 80860820
	v_mfma_f32_16x16x32_fp8_fp8 v[68:71], a[66:67], v[178:179], v[68:71]// 0000000066D8: D3F30044 0D136542
	v_mfma_f32_16x16x32_fp8_fp8 v[68:71], a[68:69], v[180:181], v[68:71]// 0000000066E0: D3F30044 0D136944
	v_mfma_f32_16x16x32_fp8_fp8 v[68:71], a[70:71], v[182:183], v[68:71]// 0000000066E8: D3F30044 0D136D46
	v_mfma_f32_16x16x32_fp8_fp8 v[68:71], a[72:73], v[184:185], v[68:71]// 0000000066F0: D3F30044 0D137148
	buffer_load_dwordx4 a[12:15], v32, s[24:27], 0 offen offset:3072// 0000000066F8: E05C1C00 80860C20
	v_mfma_f32_16x16x32_fp8_fp8 v[68:71], a[74:75], v[186:187], v[68:71]// 000000006700: D3F30044 0D13754A
	v_mfma_f32_16x16x32_fp8_fp8 v[68:71], a[76:77], v[188:189], v[68:71]// 000000006708: D3F30044 0D13794C
	v_mfma_f32_16x16x32_fp8_fp8 v[68:71], a[78:79], v[190:191], v[68:71]// 000000006710: D3F30044 0D137D4E
	v_mfma_f32_16x16x32_fp8_fp8 v[72:75], a[80:81], v[160:161], v[72:75]// 000000006718: D3F30048 0D234150
	buffer_load_dwordx4 a[16:19], v33, s[24:27], 0 offen       // 000000006720: E05C1000 80861021
	v_mfma_f32_16x16x32_fp8_fp8 v[72:75], a[82:83], v[162:163], v[72:75]// 000000006728: D3F30048 0D234552
	v_mfma_f32_16x16x32_fp8_fp8 v[72:75], a[84:85], v[164:165], v[72:75]// 000000006730: D3F30048 0D234954
	v_mfma_f32_16x16x32_fp8_fp8 v[72:75], a[86:87], v[166:167], v[72:75]// 000000006738: D3F30048 0D234D56
	v_mfma_f32_16x16x32_fp8_fp8 v[72:75], a[88:89], v[168:169], v[72:75]// 000000006740: D3F30048 0D235158
	buffer_load_dwordx4 a[20:23], v33, s[24:27], 0 offen offset:1024// 000000006748: E05C1400 80861421
	v_mfma_f32_16x16x32_fp8_fp8 v[72:75], a[90:91], v[170:171], v[72:75]// 000000006750: D3F30048 0D23555A
	v_mfma_f32_16x16x32_fp8_fp8 v[72:75], a[92:93], v[172:173], v[72:75]// 000000006758: D3F30048 0D23595C
	v_mfma_f32_16x16x32_fp8_fp8 v[72:75], a[94:95], v[174:175], v[72:75]// 000000006760: D3F30048 0D235D5E
	v_mfma_f32_16x16x32_fp8_fp8 v[76:79], a[80:81], v[176:177], v[76:79]// 000000006768: D3F3004C 0D336150
	buffer_load_dwordx4 a[24:27], v33, s[24:27], 0 offen offset:2048// 000000006770: E05C1800 80861821
	v_mfma_f32_16x16x32_fp8_fp8 v[76:79], a[82:83], v[178:179], v[76:79]// 000000006778: D3F3004C 0D336552
	v_mfma_f32_16x16x32_fp8_fp8 v[76:79], a[84:85], v[180:181], v[76:79]// 000000006780: D3F3004C 0D336954
	v_mfma_f32_16x16x32_fp8_fp8 v[76:79], a[86:87], v[182:183], v[76:79]// 000000006788: D3F3004C 0D336D56
	v_mfma_f32_16x16x32_fp8_fp8 v[76:79], a[88:89], v[184:185], v[76:79]// 000000006790: D3F3004C 0D337158
	buffer_load_dwordx4 a[28:31], v33, s[24:27], 0 offen offset:3072// 000000006798: E05C1C00 80861C21
	v_mfma_f32_16x16x32_fp8_fp8 v[76:79], a[90:91], v[186:187], v[76:79]// 0000000067A0: D3F3004C 0D33755A
	v_mfma_f32_16x16x32_fp8_fp8 v[76:79], a[92:93], v[188:189], v[76:79]// 0000000067A8: D3F3004C 0D33795C
	v_mfma_f32_16x16x32_fp8_fp8 v[76:79], a[94:95], v[190:191], v[76:79]// 0000000067B0: D3F3004C 0D337D5E
	s_waitcnt vmcnt(12)                                        // 0000000067B8: BF8C0F7C
	v_mfma_f32_16x16x32_fp8_fp8 v[80:83], a[96:97], v[160:161], v[80:83]// 0000000067BC: D3F30050 0D434160
	buffer_load_dwordx4 a[32:35], v34, s[24:27], 0 offen       // 0000000067C4: E05C1000 80862022
	v_mfma_f32_16x16x32_fp8_fp8 v[80:83], a[98:99], v[162:163], v[80:83]// 0000000067CC: D3F30050 0D434562
	v_mfma_f32_16x16x32_fp8_fp8 v[80:83], a[100:101], v[164:165], v[80:83]// 0000000067D4: D3F30050 0D434964
	ds_read_b128 v[192:195], v2 offset:8320                    // 0000000067DC: D9FE2080 C0000002
	v_mfma_f32_16x16x32_fp8_fp8 v[80:83], a[102:103], v[166:167], v[80:83]// 0000000067E4: D3F30050 0D434D66
	v_mfma_f32_16x16x32_fp8_fp8 v[80:83], a[104:105], v[168:169], v[80:83]// 0000000067EC: D3F30050 0D435168
	buffer_load_dwordx4 a[36:39], v34, s[24:27], 0 offen offset:1024// 0000000067F4: E05C1400 80862422
	v_mfma_f32_16x16x32_fp8_fp8 v[80:83], a[106:107], v[170:171], v[80:83]// 0000000067FC: D3F30050 0D43556A
	v_mfma_f32_16x16x32_fp8_fp8 v[80:83], a[108:109], v[172:173], v[80:83]// 000000006804: D3F30050 0D43596C
	ds_read_b128 v[196:199], v2 offset:8384                    // 00000000680C: D9FE20C0 C4000002
	v_mfma_f32_16x16x32_fp8_fp8 v[80:83], a[110:111], v[174:175], v[80:83]// 000000006814: D3F30050 0D435D6E
	v_mfma_f32_16x16x32_fp8_fp8 v[84:87], a[96:97], v[176:177], v[84:87]// 00000000681C: D3F30054 0D536160
	buffer_load_dwordx4 a[40:43], v34, s[24:27], 0 offen offset:2048// 000000006824: E05C1800 80862822
	v_mfma_f32_16x16x32_fp8_fp8 v[84:87], a[98:99], v[178:179], v[84:87]// 00000000682C: D3F30054 0D536562
	v_mfma_f32_16x16x32_fp8_fp8 v[84:87], a[100:101], v[180:181], v[84:87]// 000000006834: D3F30054 0D536964
	ds_read_b128 v[200:203], v2 offset:8448                    // 00000000683C: D9FE2100 C8000002
	v_mfma_f32_16x16x32_fp8_fp8 v[84:87], a[102:103], v[182:183], v[84:87]// 000000006844: D3F30054 0D536D66
	v_mfma_f32_16x16x32_fp8_fp8 v[84:87], a[104:105], v[184:185], v[84:87]// 00000000684C: D3F30054 0D537168
	buffer_load_dwordx4 a[44:47], v34, s[24:27], 0 offen offset:3072// 000000006854: E05C1C00 80862C22
	v_mfma_f32_16x16x32_fp8_fp8 v[84:87], a[106:107], v[186:187], v[84:87]// 00000000685C: D3F30054 0D53756A
	v_mfma_f32_16x16x32_fp8_fp8 v[84:87], a[108:109], v[188:189], v[84:87]// 000000006864: D3F30054 0D53796C
	ds_read_b128 v[204:207], v2 offset:8512                    // 00000000686C: D9FE2140 CC000002
	v_mfma_f32_16x16x32_fp8_fp8 v[84:87], a[110:111], v[190:191], v[84:87]// 000000006874: D3F30054 0D537D6E
	s_waitcnt vmcnt(12)                                        // 00000000687C: BF8C0F7C
	v_mfma_f32_16x16x32_fp8_fp8 v[88:91], a[112:113], v[160:161], v[88:91]// 000000006880: D3F30058 0D634170
	buffer_load_dwordx4 a[48:51], v35, s[24:27], 0 offen       // 000000006888: E05C1000 80863023
	v_mfma_f32_16x16x32_fp8_fp8 v[88:91], a[114:115], v[162:163], v[88:91]// 000000006890: D3F30058 0D634572
	v_mfma_f32_16x16x32_fp8_fp8 v[88:91], a[116:117], v[164:165], v[88:91]// 000000006898: D3F30058 0D634974
	ds_read_b128 v[208:211], v2 offset:9344                    // 0000000068A0: D9FE2480 D0000002
	v_mfma_f32_16x16x32_fp8_fp8 v[88:91], a[118:119], v[166:167], v[88:91]// 0000000068A8: D3F30058 0D634D76
	v_mfma_f32_16x16x32_fp8_fp8 v[88:91], a[120:121], v[168:169], v[88:91]// 0000000068B0: D3F30058 0D635178
	buffer_load_dwordx4 a[52:55], v35, s[24:27], 0 offen offset:1024// 0000000068B8: E05C1400 80863423
	v_mfma_f32_16x16x32_fp8_fp8 v[88:91], a[122:123], v[170:171], v[88:91]// 0000000068C0: D3F30058 0D63557A
	v_mfma_f32_16x16x32_fp8_fp8 v[88:91], a[124:125], v[172:173], v[88:91]// 0000000068C8: D3F30058 0D63597C
	ds_read_b128 v[212:215], v2 offset:9408                    // 0000000068D0: D9FE24C0 D4000002
	v_mfma_f32_16x16x32_fp8_fp8 v[88:91], a[126:127], v[174:175], v[88:91]// 0000000068D8: D3F30058 0D635D7E
	v_mfma_f32_16x16x32_fp8_fp8 v[92:95], a[112:113], v[176:177], v[92:95]// 0000000068E0: D3F3005C 0D736170
	buffer_load_dwordx4 a[56:59], v35, s[24:27], 0 offen offset:2048// 0000000068E8: E05C1800 80863823
	v_mfma_f32_16x16x32_fp8_fp8 v[92:95], a[114:115], v[178:179], v[92:95]// 0000000068F0: D3F3005C 0D736572
	v_mfma_f32_16x16x32_fp8_fp8 v[92:95], a[116:117], v[180:181], v[92:95]// 0000000068F8: D3F3005C 0D736974
	ds_read_b128 v[216:219], v2 offset:9472                    // 000000006900: D9FE2500 D8000002
	v_mfma_f32_16x16x32_fp8_fp8 v[92:95], a[118:119], v[182:183], v[92:95]// 000000006908: D3F3005C 0D736D76
	v_mfma_f32_16x16x32_fp8_fp8 v[92:95], a[120:121], v[184:185], v[92:95]// 000000006910: D3F3005C 0D737178
	buffer_load_dwordx4 a[60:63], v35, s[24:27], 0 offen offset:3072// 000000006918: E05C1C00 80863C23
	v_mfma_f32_16x16x32_fp8_fp8 v[92:95], a[122:123], v[186:187], v[92:95]// 000000006920: D3F3005C 0D73757A
	v_mfma_f32_16x16x32_fp8_fp8 v[92:95], a[124:125], v[188:189], v[92:95]// 000000006928: D3F3005C 0D73797C
	ds_read_b128 v[220:223], v2 offset:9536                    // 000000006930: D9FE2540 DC000002
	v_mfma_f32_16x16x32_fp8_fp8 v[92:95], a[126:127], v[190:191], v[92:95]// 000000006938: D3F3005C 0D737D7E
	s_add_u32 s60, 0x200, s80                                  // 000000006940: 803C50FF 00000200
	s_cmp_lt_u32 s60, s81                                      // 000000006948: BF0A513C
	s_cselect_b32 s57, s57, 0                                  // 00000000694C: 85398039
	s_add_u32 s60, 0x200, s80                                  // 000000006950: 803C50FF 00000200
	s_cmp_lt_u32 s60, s81                                      // 000000006958: BF0A513C
	s_cselect_b32 s58, s58, 0                                  // 00000000695C: 853A803A
	s_add_u32 s20, s57, s20                                    // 000000006960: 80141439
	s_addc_u32 s21, 0, s21                                     // 000000006964: 82151580
	s_add_u32 s24, s58, s24                                    // 000000006968: 8018183A
	s_addc_u32 s25, 0, s25                                     // 00000000696C: 82191980
	s_add_u32 s92, s90, s92                                    // 000000006970: 805C5C5A
	s_addc_u32 s93, 0, s93                                     // 000000006974: 825D5D80
	s_addk_i32 s80, 0x100                                      // 000000006978: B7500100
	s_cmp_lt_i32 s80, s81                                      // 00000000697C: BF045150
	s_cbranch_scc0 label_112A                                  // 000000006980: BF840189
	s_waitcnt vmcnt(8) lgkmcnt(0)                              // 000000006984: BF8C0078
	s_barrier                                                  // 000000006988: BF8A0000
	v_mfma_f32_16x16x32_fp8_fp8 v[128:131], a[0:1], v[192:193], v[128:131]// 00000000698C: D3F30080 0E038100
	buffer_load_dwordx4 a[64:67], v32, s[92:95], 0 offen       // 000000006994: E05C1000 80974020
	v_mfma_f32_16x16x32_fp8_fp8 v[128:131], a[2:3], v[194:195], v[128:131]// 00000000699C: D3F30080 0E038502
	v_mfma_f32_16x16x32_fp8_fp8 v[128:131], a[4:5], v[196:197], v[128:131]// 0000000069A4: D3F30080 0E038904
	buffer_load_dword v24, s[20:23], 0 offen lds               // 0000000069AC: E0511000 80050018
	s_add_u32 m0, 0x100, s50                                   // 0000000069B4: 807C32FF 00000100
	v_mfma_f32_16x16x32_fp8_fp8 v[128:131], a[6:7], v[198:199], v[128:131]// 0000000069BC: D3F30080 0E038D06
	v_mfma_f32_16x16x32_fp8_fp8 v[128:131], a[8:9], v[200:201], v[128:131]// 0000000069C4: D3F30080 0E039108
	buffer_load_dwordx4 a[68:71], v32, s[92:95], 0 offen offset:1024// 0000000069CC: E05C1400 80974420
	v_mfma_f32_16x16x32_fp8_fp8 v[128:131], a[10:11], v[202:203], v[128:131]// 0000000069D4: D3F30080 0E03950A
	v_mfma_f32_16x16x32_fp8_fp8 v[128:131], a[12:13], v[204:205], v[128:131]// 0000000069DC: D3F30080 0E03990C
	buffer_load_dword v25, s[20:23], 0 offen lds               // 0000000069E4: E0511000 80050019
	s_add_u32 m0, 0x200, s50                                   // 0000000069EC: 807C32FF 00000200
	v_mfma_f32_16x16x32_fp8_fp8 v[128:131], a[14:15], v[206:207], v[128:131]// 0000000069F4: D3F30080 0E039D0E
	v_mfma_f32_16x16x32_fp8_fp8 v[132:135], a[0:1], v[208:209], v[132:135]// 0000000069FC: D3F30084 0E13A100
	buffer_load_dwordx4 a[72:75], v32, s[92:95], 0 offen offset:2048// 000000006A04: E05C1800 80974820
	v_mfma_f32_16x16x32_fp8_fp8 v[132:135], a[2:3], v[210:211], v[132:135]// 000000006A0C: D3F30084 0E13A502
	v_mfma_f32_16x16x32_fp8_fp8 v[132:135], a[4:5], v[212:213], v[132:135]// 000000006A14: D3F30084 0E13A904
	buffer_load_dword v26, s[20:23], 0 offen lds               // 000000006A1C: E0511000 8005001A
	s_add_u32 m0, 0x300, s50                                   // 000000006A24: 807C32FF 00000300
	v_mfma_f32_16x16x32_fp8_fp8 v[132:135], a[6:7], v[214:215], v[132:135]// 000000006A2C: D3F30084 0E13AD06
	v_mfma_f32_16x16x32_fp8_fp8 v[132:135], a[8:9], v[216:217], v[132:135]// 000000006A34: D3F30084 0E13B108
	buffer_load_dwordx4 a[76:79], v32, s[92:95], 0 offen offset:3072// 000000006A3C: E05C1C00 80974C20
	v_mfma_f32_16x16x32_fp8_fp8 v[132:135], a[10:11], v[218:219], v[132:135]// 000000006A44: D3F30084 0E13B50A
	v_mfma_f32_16x16x32_fp8_fp8 v[132:135], a[12:13], v[220:221], v[132:135]// 000000006A4C: D3F30084 0E13B90C
	buffer_load_dword v27, s[20:23], 0 offen lds               // 000000006A54: E0511000 8005001B
	s_add_u32 m0, 0x400, s50                                   // 000000006A5C: 807C32FF 00000400
	v_mfma_f32_16x16x32_fp8_fp8 v[132:135], a[14:15], v[222:223], v[132:135]// 000000006A64: D3F30084 0E13BD0E
	v_mfma_f32_16x16x32_fp8_fp8 v[136:139], a[16:17], v[192:193], v[136:139]// 000000006A6C: D3F30088 0E238110
	buffer_load_dwordx4 a[80:83], v33, s[92:95], 0 offen       // 000000006A74: E05C1000 80975021
	v_mfma_f32_16x16x32_fp8_fp8 v[136:139], a[18:19], v[194:195], v[136:139]// 000000006A7C: D3F30088 0E238512
	v_mfma_f32_16x16x32_fp8_fp8 v[136:139], a[20:21], v[196:197], v[136:139]// 000000006A84: D3F30088 0E238914
	buffer_load_dword v28, s[20:23], 0 offen lds               // 000000006A8C: E0511000 8005001C
	s_add_u32 m0, 0x500, s50                                   // 000000006A94: 807C32FF 00000500
	v_mfma_f32_16x16x32_fp8_fp8 v[136:139], a[22:23], v[198:199], v[136:139]// 000000006A9C: D3F30088 0E238D16
	v_mfma_f32_16x16x32_fp8_fp8 v[136:139], a[24:25], v[200:201], v[136:139]// 000000006AA4: D3F30088 0E239118
	buffer_load_dwordx4 a[84:87], v33, s[92:95], 0 offen offset:1024// 000000006AAC: E05C1400 80975421
	v_mfma_f32_16x16x32_fp8_fp8 v[136:139], a[26:27], v[202:203], v[136:139]// 000000006AB4: D3F30088 0E23951A
	v_mfma_f32_16x16x32_fp8_fp8 v[136:139], a[28:29], v[204:205], v[136:139]// 000000006ABC: D3F30088 0E23991C
	buffer_load_dword v29, s[20:23], 0 offen lds               // 000000006AC4: E0511000 8005001D
	s_add_u32 m0, 0x600, s50                                   // 000000006ACC: 807C32FF 00000600
	v_mfma_f32_16x16x32_fp8_fp8 v[136:139], a[30:31], v[206:207], v[136:139]// 000000006AD4: D3F30088 0E239D1E
	v_mfma_f32_16x16x32_fp8_fp8 v[140:143], a[16:17], v[208:209], v[140:143]// 000000006ADC: D3F3008C 0E33A110
	buffer_load_dwordx4 a[88:91], v33, s[92:95], 0 offen offset:2048// 000000006AE4: E05C1800 80975821
	v_mfma_f32_16x16x32_fp8_fp8 v[140:143], a[18:19], v[210:211], v[140:143]// 000000006AEC: D3F3008C 0E33A512
	v_mfma_f32_16x16x32_fp8_fp8 v[140:143], a[20:21], v[212:213], v[140:143]// 000000006AF4: D3F3008C 0E33A914
	buffer_load_dword v30, s[20:23], 0 offen lds               // 000000006AFC: E0511000 8005001E
	s_add_u32 m0, 0x700, s50                                   // 000000006B04: 807C32FF 00000700
	v_mfma_f32_16x16x32_fp8_fp8 v[140:143], a[22:23], v[214:215], v[140:143]// 000000006B0C: D3F3008C 0E33AD16
	v_mfma_f32_16x16x32_fp8_fp8 v[140:143], a[24:25], v[216:217], v[140:143]// 000000006B14: D3F3008C 0E33B118
	buffer_load_dwordx4 a[92:95], v33, s[92:95], 0 offen offset:3072// 000000006B1C: E05C1C00 80975C21
	v_mfma_f32_16x16x32_fp8_fp8 v[140:143], a[26:27], v[218:219], v[140:143]// 000000006B24: D3F3008C 0E33B51A
	v_mfma_f32_16x16x32_fp8_fp8 v[140:143], a[28:29], v[220:221], v[140:143]// 000000006B2C: D3F3008C 0E33B91C
	buffer_load_dword v31, s[20:23], 0 offen lds               // 000000006B34: E0511000 8005001F
	s_add_u32 m0, 0, s51                                       // 000000006B3C: 807C3380
	v_mfma_f32_16x16x32_fp8_fp8 v[140:143], a[30:31], v[222:223], v[140:143]// 000000006B40: D3F3008C 0E33BD1E
	s_waitcnt vmcnt(20)                                        // 000000006B48: BF8C4F74
	v_mfma_f32_16x16x32_fp8_fp8 v[144:147], a[32:33], v[192:193], v[144:147]// 000000006B4C: D3F30090 0E438120
	buffer_load_dwordx4 a[96:99], v34, s[92:95], 0 offen       // 000000006B54: E05C1000 80976022
	v_mfma_f32_16x16x32_fp8_fp8 v[144:147], a[34:35], v[194:195], v[144:147]// 000000006B5C: D3F30090 0E438522
	v_mfma_f32_16x16x32_fp8_fp8 v[144:147], a[36:37], v[196:197], v[144:147]// 000000006B64: D3F30090 0E438924
	v_mfma_f32_16x16x32_fp8_fp8 v[144:147], a[38:39], v[198:199], v[144:147]// 000000006B6C: D3F30090 0E438D26
	v_mfma_f32_16x16x32_fp8_fp8 v[144:147], a[40:41], v[200:201], v[144:147]// 000000006B74: D3F30090 0E439128
	buffer_load_dwordx4 a[100:103], v34, s[92:95], 0 offen offset:1024// 000000006B7C: E05C1400 80976422
	v_mfma_f32_16x16x32_fp8_fp8 v[144:147], a[42:43], v[202:203], v[144:147]// 000000006B84: D3F30090 0E43952A
	v_mfma_f32_16x16x32_fp8_fp8 v[144:147], a[44:45], v[204:205], v[144:147]// 000000006B8C: D3F30090 0E43992C
	v_mfma_f32_16x16x32_fp8_fp8 v[144:147], a[46:47], v[206:207], v[144:147]// 000000006B94: D3F30090 0E439D2E
	v_mfma_f32_16x16x32_fp8_fp8 v[148:151], a[32:33], v[208:209], v[148:151]// 000000006B9C: D3F30094 0E53A120
	buffer_load_dwordx4 a[104:107], v34, s[92:95], 0 offen offset:2048// 000000006BA4: E05C1800 80976822
	v_mfma_f32_16x16x32_fp8_fp8 v[148:151], a[34:35], v[210:211], v[148:151]// 000000006BAC: D3F30094 0E53A522
	v_mfma_f32_16x16x32_fp8_fp8 v[148:151], a[36:37], v[212:213], v[148:151]// 000000006BB4: D3F30094 0E53A924
	v_mfma_f32_16x16x32_fp8_fp8 v[148:151], a[38:39], v[214:215], v[148:151]// 000000006BBC: D3F30094 0E53AD26
	v_mfma_f32_16x16x32_fp8_fp8 v[148:151], a[40:41], v[216:217], v[148:151]// 000000006BC4: D3F30094 0E53B128
	buffer_load_dwordx4 a[108:111], v34, s[92:95], 0 offen offset:3072// 000000006BCC: E05C1C00 80976C22
	v_mfma_f32_16x16x32_fp8_fp8 v[148:151], a[42:43], v[218:219], v[148:151]// 000000006BD4: D3F30094 0E53B52A
	v_mfma_f32_16x16x32_fp8_fp8 v[148:151], a[44:45], v[220:221], v[148:151]// 000000006BDC: D3F30094 0E53B92C
	v_mfma_f32_16x16x32_fp8_fp8 v[148:151], a[46:47], v[222:223], v[148:151]// 000000006BE4: D3F30094 0E53BD2E
	s_waitcnt vmcnt(20)                                        // 000000006BEC: BF8C4F74
	v_mfma_f32_16x16x32_fp8_fp8 v[152:155], a[48:49], v[192:193], v[152:155]// 000000006BF0: D3F30098 0E638130
	buffer_load_dwordx4 a[112:115], v35, s[92:95], 0 offen     // 000000006BF8: E05C1000 80977023
	v_mfma_f32_16x16x32_fp8_fp8 v[152:155], a[50:51], v[194:195], v[152:155]// 000000006C00: D3F30098 0E638532
	v_mfma_f32_16x16x32_fp8_fp8 v[152:155], a[52:53], v[196:197], v[152:155]// 000000006C08: D3F30098 0E638934
	v_mfma_f32_16x16x32_fp8_fp8 v[152:155], a[54:55], v[198:199], v[152:155]// 000000006C10: D3F30098 0E638D36
	v_mfma_f32_16x16x32_fp8_fp8 v[152:155], a[56:57], v[200:201], v[152:155]// 000000006C18: D3F30098 0E639138
	buffer_load_dwordx4 a[116:119], v35, s[92:95], 0 offen offset:1024// 000000006C20: E05C1400 80977423
	v_mfma_f32_16x16x32_fp8_fp8 v[152:155], a[58:59], v[202:203], v[152:155]// 000000006C28: D3F30098 0E63953A
	v_mfma_f32_16x16x32_fp8_fp8 v[152:155], a[60:61], v[204:205], v[152:155]// 000000006C30: D3F30098 0E63993C
	v_mfma_f32_16x16x32_fp8_fp8 v[152:155], a[62:63], v[206:207], v[152:155]// 000000006C38: D3F30098 0E639D3E
	v_mfma_f32_16x16x32_fp8_fp8 v[156:159], a[48:49], v[208:209], v[156:159]// 000000006C40: D3F3009C 0E73A130
	buffer_load_dwordx4 a[120:123], v35, s[92:95], 0 offen offset:2048// 000000006C48: E05C1800 80977823
	v_mfma_f32_16x16x32_fp8_fp8 v[156:159], a[50:51], v[210:211], v[156:159]// 000000006C50: D3F3009C 0E73A532
	v_mfma_f32_16x16x32_fp8_fp8 v[156:159], a[52:53], v[212:213], v[156:159]// 000000006C58: D3F3009C 0E73A934
	v_mfma_f32_16x16x32_fp8_fp8 v[156:159], a[54:55], v[214:215], v[156:159]// 000000006C60: D3F3009C 0E73AD36
	v_mfma_f32_16x16x32_fp8_fp8 v[156:159], a[56:57], v[216:217], v[156:159]// 000000006C68: D3F3009C 0E73B138
	buffer_load_dwordx4 a[124:127], v35, s[92:95], 0 offen offset:3072// 000000006C70: E05C1C00 80977C23
	v_mfma_f32_16x16x32_fp8_fp8 v[156:159], a[58:59], v[218:219], v[156:159]// 000000006C78: D3F3009C 0E73B53A
	v_mfma_f32_16x16x32_fp8_fp8 v[156:159], a[60:61], v[220:221], v[156:159]// 000000006C80: D3F3009C 0E73B93C
	v_mfma_f32_16x16x32_fp8_fp8 v[156:159], a[62:63], v[222:223], v[156:159]// 000000006C88: D3F3009C 0E73BD3E
	s_waitcnt vmcnt(8)                                         // 000000006C90: BF8C0F78
	s_barrier                                                  // 000000006C94: BF8A0000
	v_mfma_f32_16x16x32_fp8_fp8 v[64:67], a[64:65], v[192:193], v[64:67]// 000000006C98: D3F30040 0D038140
	buffer_load_dwordx4 a[0:3], v32, s[24:27], 0 offen         // 000000006CA0: E05C1000 80860020
	v_mfma_f32_16x16x32_fp8_fp8 v[64:67], a[66:67], v[194:195], v[64:67]// 000000006CA8: D3F30040 0D038542
	v_mfma_f32_16x16x32_fp8_fp8 v[64:67], a[68:69], v[196:197], v[64:67]// 000000006CB0: D3F30040 0D038944
	v_mfma_f32_16x16x32_fp8_fp8 v[64:67], a[70:71], v[198:199], v[64:67]// 000000006CB8: D3F30040 0D038D46
	v_mfma_f32_16x16x32_fp8_fp8 v[64:67], a[72:73], v[200:201], v[64:67]// 000000006CC0: D3F30040 0D039148
	buffer_load_dwordx4 a[4:7], v32, s[24:27], 0 offen offset:1024// 000000006CC8: E05C1400 80860420
	v_mfma_f32_16x16x32_fp8_fp8 v[64:67], a[74:75], v[202:203], v[64:67]// 000000006CD0: D3F30040 0D03954A
	v_mfma_f32_16x16x32_fp8_fp8 v[64:67], a[76:77], v[204:205], v[64:67]// 000000006CD8: D3F30040 0D03994C
	v_mfma_f32_16x16x32_fp8_fp8 v[64:67], a[78:79], v[206:207], v[64:67]// 000000006CE0: D3F30040 0D039D4E
	v_mfma_f32_16x16x32_fp8_fp8 v[68:71], a[64:65], v[208:209], v[68:71]// 000000006CE8: D3F30044 0D13A140
	buffer_load_dwordx4 a[8:11], v32, s[24:27], 0 offen offset:2048// 000000006CF0: E05C1800 80860820
	v_mfma_f32_16x16x32_fp8_fp8 v[68:71], a[66:67], v[210:211], v[68:71]// 000000006CF8: D3F30044 0D13A542
	v_mfma_f32_16x16x32_fp8_fp8 v[68:71], a[68:69], v[212:213], v[68:71]// 000000006D00: D3F30044 0D13A944
	v_mfma_f32_16x16x32_fp8_fp8 v[68:71], a[70:71], v[214:215], v[68:71]// 000000006D08: D3F30044 0D13AD46
	v_mfma_f32_16x16x32_fp8_fp8 v[68:71], a[72:73], v[216:217], v[68:71]// 000000006D10: D3F30044 0D13B148
	buffer_load_dwordx4 a[12:15], v32, s[24:27], 0 offen offset:3072// 000000006D18: E05C1C00 80860C20
	v_mfma_f32_16x16x32_fp8_fp8 v[68:71], a[74:75], v[218:219], v[68:71]// 000000006D20: D3F30044 0D13B54A
	v_mfma_f32_16x16x32_fp8_fp8 v[68:71], a[76:77], v[220:221], v[68:71]// 000000006D28: D3F30044 0D13B94C
	v_mfma_f32_16x16x32_fp8_fp8 v[68:71], a[78:79], v[222:223], v[68:71]// 000000006D30: D3F30044 0D13BD4E
	v_mfma_f32_16x16x32_fp8_fp8 v[72:75], a[80:81], v[192:193], v[72:75]// 000000006D38: D3F30048 0D238150
	buffer_load_dwordx4 a[16:19], v33, s[24:27], 0 offen       // 000000006D40: E05C1000 80861021
	v_mfma_f32_16x16x32_fp8_fp8 v[72:75], a[82:83], v[194:195], v[72:75]// 000000006D48: D3F30048 0D238552
	v_mfma_f32_16x16x32_fp8_fp8 v[72:75], a[84:85], v[196:197], v[72:75]// 000000006D50: D3F30048 0D238954
	v_mfma_f32_16x16x32_fp8_fp8 v[72:75], a[86:87], v[198:199], v[72:75]// 000000006D58: D3F30048 0D238D56
	v_mfma_f32_16x16x32_fp8_fp8 v[72:75], a[88:89], v[200:201], v[72:75]// 000000006D60: D3F30048 0D239158
	buffer_load_dwordx4 a[20:23], v33, s[24:27], 0 offen offset:1024// 000000006D68: E05C1400 80861421
	v_mfma_f32_16x16x32_fp8_fp8 v[72:75], a[90:91], v[202:203], v[72:75]// 000000006D70: D3F30048 0D23955A
	v_mfma_f32_16x16x32_fp8_fp8 v[72:75], a[92:93], v[204:205], v[72:75]// 000000006D78: D3F30048 0D23995C
	v_mfma_f32_16x16x32_fp8_fp8 v[72:75], a[94:95], v[206:207], v[72:75]// 000000006D80: D3F30048 0D239D5E
	v_mfma_f32_16x16x32_fp8_fp8 v[76:79], a[80:81], v[208:209], v[76:79]// 000000006D88: D3F3004C 0D33A150
	buffer_load_dwordx4 a[24:27], v33, s[24:27], 0 offen offset:2048// 000000006D90: E05C1800 80861821
	v_mfma_f32_16x16x32_fp8_fp8 v[76:79], a[82:83], v[210:211], v[76:79]// 000000006D98: D3F3004C 0D33A552
	v_mfma_f32_16x16x32_fp8_fp8 v[76:79], a[84:85], v[212:213], v[76:79]// 000000006DA0: D3F3004C 0D33A954
	v_mfma_f32_16x16x32_fp8_fp8 v[76:79], a[86:87], v[214:215], v[76:79]// 000000006DA8: D3F3004C 0D33AD56
	v_mfma_f32_16x16x32_fp8_fp8 v[76:79], a[88:89], v[216:217], v[76:79]// 000000006DB0: D3F3004C 0D33B158
	buffer_load_dwordx4 a[28:31], v33, s[24:27], 0 offen offset:3072// 000000006DB8: E05C1C00 80861C21
	v_mfma_f32_16x16x32_fp8_fp8 v[76:79], a[90:91], v[218:219], v[76:79]// 000000006DC0: D3F3004C 0D33B55A
	v_mfma_f32_16x16x32_fp8_fp8 v[76:79], a[92:93], v[220:221], v[76:79]// 000000006DC8: D3F3004C 0D33B95C
	v_mfma_f32_16x16x32_fp8_fp8 v[76:79], a[94:95], v[222:223], v[76:79]// 000000006DD0: D3F3004C 0D33BD5E
	s_waitcnt vmcnt(12)                                        // 000000006DD8: BF8C0F7C
	v_mfma_f32_16x16x32_fp8_fp8 v[80:83], a[96:97], v[192:193], v[80:83]// 000000006DDC: D3F30050 0D438160
	buffer_load_dwordx4 a[32:35], v34, s[24:27], 0 offen       // 000000006DE4: E05C1000 80862022
	v_mfma_f32_16x16x32_fp8_fp8 v[80:83], a[98:99], v[194:195], v[80:83]// 000000006DEC: D3F30050 0D438562
	v_mfma_f32_16x16x32_fp8_fp8 v[80:83], a[100:101], v[196:197], v[80:83]// 000000006DF4: D3F30050 0D438964
	ds_read_b128 v[160:163], v2                                // 000000006DFC: D9FE0000 A0000002
	v_mfma_f32_16x16x32_fp8_fp8 v[80:83], a[102:103], v[198:199], v[80:83]// 000000006E04: D3F30050 0D438D66
	v_mfma_f32_16x16x32_fp8_fp8 v[80:83], a[104:105], v[200:201], v[80:83]// 000000006E0C: D3F30050 0D439168
	buffer_load_dwordx4 a[36:39], v34, s[24:27], 0 offen offset:1024// 000000006E14: E05C1400 80862422
	v_mfma_f32_16x16x32_fp8_fp8 v[80:83], a[106:107], v[202:203], v[80:83]// 000000006E1C: D3F30050 0D43956A
	v_mfma_f32_16x16x32_fp8_fp8 v[80:83], a[108:109], v[204:205], v[80:83]// 000000006E24: D3F30050 0D43996C
	ds_read_b128 v[164:167], v2 offset:64                      // 000000006E2C: D9FE0040 A4000002
	v_mfma_f32_16x16x32_fp8_fp8 v[80:83], a[110:111], v[206:207], v[80:83]// 000000006E34: D3F30050 0D439D6E
	v_mfma_f32_16x16x32_fp8_fp8 v[84:87], a[96:97], v[208:209], v[84:87]// 000000006E3C: D3F30054 0D53A160
	buffer_load_dwordx4 a[40:43], v34, s[24:27], 0 offen offset:2048// 000000006E44: E05C1800 80862822
	v_mfma_f32_16x16x32_fp8_fp8 v[84:87], a[98:99], v[210:211], v[84:87]// 000000006E4C: D3F30054 0D53A562
	v_mfma_f32_16x16x32_fp8_fp8 v[84:87], a[100:101], v[212:213], v[84:87]// 000000006E54: D3F30054 0D53A964
	ds_read_b128 v[168:171], v2 offset:128                     // 000000006E5C: D9FE0080 A8000002
	v_mfma_f32_16x16x32_fp8_fp8 v[84:87], a[102:103], v[214:215], v[84:87]// 000000006E64: D3F30054 0D53AD66
	v_mfma_f32_16x16x32_fp8_fp8 v[84:87], a[104:105], v[216:217], v[84:87]// 000000006E6C: D3F30054 0D53B168
	buffer_load_dwordx4 a[44:47], v34, s[24:27], 0 offen offset:3072// 000000006E74: E05C1C00 80862C22
	v_mfma_f32_16x16x32_fp8_fp8 v[84:87], a[106:107], v[218:219], v[84:87]// 000000006E7C: D3F30054 0D53B56A
	v_mfma_f32_16x16x32_fp8_fp8 v[84:87], a[108:109], v[220:221], v[84:87]// 000000006E84: D3F30054 0D53B96C
	ds_read_b128 v[172:175], v2 offset:192                     // 000000006E8C: D9FE00C0 AC000002
	v_mfma_f32_16x16x32_fp8_fp8 v[84:87], a[110:111], v[222:223], v[84:87]// 000000006E94: D3F30054 0D53BD6E
	s_waitcnt vmcnt(12)                                        // 000000006E9C: BF8C0F7C
	v_mfma_f32_16x16x32_fp8_fp8 v[88:91], a[112:113], v[192:193], v[88:91]// 000000006EA0: D3F30058 0D638170
	buffer_load_dwordx4 a[48:51], v35, s[24:27], 0 offen       // 000000006EA8: E05C1000 80863023
	v_mfma_f32_16x16x32_fp8_fp8 v[88:91], a[114:115], v[194:195], v[88:91]// 000000006EB0: D3F30058 0D638572
	v_mfma_f32_16x16x32_fp8_fp8 v[88:91], a[116:117], v[196:197], v[88:91]// 000000006EB8: D3F30058 0D638974
	ds_read_b128 v[176:179], v2 offset:1024                    // 000000006EC0: D9FE0400 B0000002
	v_mfma_f32_16x16x32_fp8_fp8 v[88:91], a[118:119], v[198:199], v[88:91]// 000000006EC8: D3F30058 0D638D76
	v_mfma_f32_16x16x32_fp8_fp8 v[88:91], a[120:121], v[200:201], v[88:91]// 000000006ED0: D3F30058 0D639178
	buffer_load_dwordx4 a[52:55], v35, s[24:27], 0 offen offset:1024// 000000006ED8: E05C1400 80863423
	v_mfma_f32_16x16x32_fp8_fp8 v[88:91], a[122:123], v[202:203], v[88:91]// 000000006EE0: D3F30058 0D63957A
	v_mfma_f32_16x16x32_fp8_fp8 v[88:91], a[124:125], v[204:205], v[88:91]// 000000006EE8: D3F30058 0D63997C
	ds_read_b128 v[180:183], v2 offset:1088                    // 000000006EF0: D9FE0440 B4000002
	v_mfma_f32_16x16x32_fp8_fp8 v[88:91], a[126:127], v[206:207], v[88:91]// 000000006EF8: D3F30058 0D639D7E
	v_mfma_f32_16x16x32_fp8_fp8 v[92:95], a[112:113], v[208:209], v[92:95]// 000000006F00: D3F3005C 0D73A170
	buffer_load_dwordx4 a[56:59], v35, s[24:27], 0 offen offset:2048// 000000006F08: E05C1800 80863823
	v_mfma_f32_16x16x32_fp8_fp8 v[92:95], a[114:115], v[210:211], v[92:95]// 000000006F10: D3F3005C 0D73A572
	v_mfma_f32_16x16x32_fp8_fp8 v[92:95], a[116:117], v[212:213], v[92:95]// 000000006F18: D3F3005C 0D73A974
	ds_read_b128 v[184:187], v2 offset:1152                    // 000000006F20: D9FE0480 B8000002
	v_mfma_f32_16x16x32_fp8_fp8 v[92:95], a[118:119], v[214:215], v[92:95]// 000000006F28: D3F3005C 0D73AD76
	v_mfma_f32_16x16x32_fp8_fp8 v[92:95], a[120:121], v[216:217], v[92:95]// 000000006F30: D3F3005C 0D73B178
	buffer_load_dwordx4 a[60:63], v35, s[24:27], 0 offen offset:3072// 000000006F38: E05C1C00 80863C23
	v_mfma_f32_16x16x32_fp8_fp8 v[92:95], a[122:123], v[218:219], v[92:95]// 000000006F40: D3F3005C 0D73B57A
	v_mfma_f32_16x16x32_fp8_fp8 v[92:95], a[124:125], v[220:221], v[92:95]// 000000006F48: D3F3005C 0D73B97C
	ds_read_b128 v[188:191], v2 offset:1216                    // 000000006F50: D9FE04C0 BC000002
	v_mfma_f32_16x16x32_fp8_fp8 v[92:95], a[126:127], v[222:223], v[92:95]// 000000006F58: D3F3005C 0D73BD7E
	s_add_u32 s60, 0x200, s80                                  // 000000006F60: 803C50FF 00000200
	s_cmp_lt_u32 s60, s81                                      // 000000006F68: BF0A513C
	s_cselect_b32 s57, s57, 0                                  // 000000006F6C: 85398039
	s_add_u32 s60, 0x200, s80                                  // 000000006F70: 803C50FF 00000200
	s_cmp_lt_u32 s60, s81                                      // 000000006F78: BF0A513C
	s_cselect_b32 s58, s58, 0                                  // 000000006F7C: 853A803A
	s_add_u32 s20, s57, s20                                    // 000000006F80: 80141439
	s_addc_u32 s21, 0, s21                                     // 000000006F84: 82151580
	s_add_u32 s24, s58, s24                                    // 000000006F88: 8018183A
	s_addc_u32 s25, 0, s25                                     // 000000006F8C: 82191980
	s_add_u32 s92, s90, s92                                    // 000000006F90: 805C5C5A
	s_addc_u32 s93, 0, s93                                     // 000000006F94: 825D5D80
	s_addk_i32 s80, 0x100                                      // 000000006F98: B7500100
	s_cmp_lt_i32 s80, s81                                      // 000000006F9C: BF045150
	s_cbranch_scc0 label_112A                                  // 000000006FA0: BF840001
	s_branch label_0E19                                        // 000000006FA4: BF82FCEF

0000000000006fa8 <label_112A>:
	s_mov_b32 s36, -1                                          // 000000006FA8: BEA400C1
	s_mov_b32 s37, -1                                          // 000000006FAC: BEA500C1
	s_mov_b64 s[60:61], 0                                      // 000000006FB0: BEBC0180
	s_cmp_lt_u32 s82, s66                                      // 000000006FB4: BF0A4252
	s_cselect_b64 s[20:21], s[36:37], s[60:61]                 // 000000006FB8: 85943C24
	s_cmp_lt_u32 s83, s66                                      // 000000006FBC: BF0A4253
	s_cselect_b64 s[22:23], s[36:37], s[60:61]                 // 000000006FC0: 85963C24
	s_cmp_lt_u32 s84, s66                                      // 000000006FC4: BF0A4254
	s_cselect_b64 s[24:25], s[36:37], s[60:61]                 // 000000006FC8: 85983C24
	s_cmp_lt_u32 s85, s66                                      // 000000006FCC: BF0A4255
	s_cselect_b64 s[26:27], s[36:37], s[60:61]                 // 000000006FD0: 859A3C24
	s_cmp_lt_u32 s86, s66                                      // 000000006FD4: BF0A4256
	s_cselect_b64 s[28:29], s[36:37], s[60:61]                 // 000000006FD8: 859C3C24
	s_cmp_lt_u32 s87, s66                                      // 000000006FDC: BF0A4257
	s_cselect_b64 s[30:31], s[36:37], s[60:61]                 // 000000006FE0: 859E3C24
	s_cmp_lt_u32 s88, s66                                      // 000000006FE4: BF0A4258
	s_cselect_b64 s[32:33], s[36:37], s[60:61]                 // 000000006FE8: 85A03C24
	s_cmp_lt_u32 s89, s66                                      // 000000006FEC: BF0A4259
	s_cselect_b64 s[34:35], s[36:37], s[60:61]                 // 000000006FF0: 85A23C24
	v_mul_f32_e32 v128, v13, v128                              // 000000006FF4: 0B01010D
	v_mul_f32_e32 v129, v13, v129                              // 000000006FF8: 0B03030D
	v_mul_f32_e32 v130, v13, v130                              // 000000006FFC: 0B05050D
	v_mul_f32_e32 v131, v13, v131                              // 000000007000: 0B07070D
	v_mul_f32_dpp v128, v15, v128 row_newbcast:0 row_mask:0xf bank_mask:0xf// 000000007004: 0B0100FA FF01500F
	v_mul_f32_dpp v129, v15, v129 row_newbcast:1 row_mask:0xf bank_mask:0xf// 00000000700C: 0B0302FA FF01510F
	v_mul_f32_dpp v130, v15, v130 row_newbcast:2 row_mask:0xf bank_mask:0xf// 000000007014: 0B0504FA FF01520F
	v_mul_f32_dpp v131, v15, v131 row_newbcast:3 row_mask:0xf bank_mask:0xf// 00000000701C: 0B0706FA FF01530F
	v_mul_f32_e32 v132, v14, v132                              // 000000007024: 0B09090E
	v_mul_f32_e32 v133, v14, v133                              // 000000007028: 0B0B0B0E
	v_mul_f32_e32 v134, v14, v134                              // 00000000702C: 0B0D0D0E
	v_mul_f32_e32 v135, v14, v135                              // 000000007030: 0B0F0F0E
	v_mul_f32_dpp v132, v15, v132 row_newbcast:0 row_mask:0xf bank_mask:0xf// 000000007034: 0B0908FA FF01500F
	v_mul_f32_dpp v133, v15, v133 row_newbcast:1 row_mask:0xf bank_mask:0xf// 00000000703C: 0B0B0AFA FF01510F
	v_mul_f32_dpp v134, v15, v134 row_newbcast:2 row_mask:0xf bank_mask:0xf// 000000007044: 0B0D0CFA FF01520F
	v_mul_f32_dpp v135, v15, v135 row_newbcast:3 row_mask:0xf bank_mask:0xf// 00000000704C: 0B0F0EFA FF01530F
	v_mul_f32_e32 v136, v13, v136                              // 000000007054: 0B11110D
	v_mul_f32_e32 v137, v13, v137                              // 000000007058: 0B13130D
	v_mul_f32_e32 v138, v13, v138                              // 00000000705C: 0B15150D
	v_mul_f32_e32 v139, v13, v139                              // 000000007060: 0B17170D
	v_mul_f32_dpp v136, v15, v136 row_newbcast:4 row_mask:0xf bank_mask:0xf// 000000007064: 0B1110FA FF01540F
	v_mul_f32_dpp v137, v15, v137 row_newbcast:5 row_mask:0xf bank_mask:0xf// 00000000706C: 0B1312FA FF01550F
	v_mul_f32_dpp v138, v15, v138 row_newbcast:6 row_mask:0xf bank_mask:0xf// 000000007074: 0B1514FA FF01560F
	v_mul_f32_dpp v139, v15, v139 row_newbcast:7 row_mask:0xf bank_mask:0xf// 00000000707C: 0B1716FA FF01570F
	v_mul_f32_e32 v140, v14, v140                              // 000000007084: 0B19190E
	v_mul_f32_e32 v141, v14, v141                              // 000000007088: 0B1B1B0E
	v_mul_f32_e32 v142, v14, v142                              // 00000000708C: 0B1D1D0E
	v_mul_f32_e32 v143, v14, v143                              // 000000007090: 0B1F1F0E
	v_mul_f32_dpp v140, v15, v140 row_newbcast:4 row_mask:0xf bank_mask:0xf// 000000007094: 0B1918FA FF01540F
	v_mul_f32_dpp v141, v15, v141 row_newbcast:5 row_mask:0xf bank_mask:0xf// 00000000709C: 0B1B1AFA FF01550F
	v_mul_f32_dpp v142, v15, v142 row_newbcast:6 row_mask:0xf bank_mask:0xf// 0000000070A4: 0B1D1CFA FF01560F
	v_mul_f32_dpp v143, v15, v143 row_newbcast:7 row_mask:0xf bank_mask:0xf// 0000000070AC: 0B1F1EFA FF01570F
	v_mul_f32_e32 v144, v13, v144                              // 0000000070B4: 0B21210D
	v_mul_f32_e32 v145, v13, v145                              // 0000000070B8: 0B23230D
	v_mul_f32_e32 v146, v13, v146                              // 0000000070BC: 0B25250D
	v_mul_f32_e32 v147, v13, v147                              // 0000000070C0: 0B27270D
	v_mul_f32_dpp v144, v15, v144 row_newbcast:8 row_mask:0xf bank_mask:0xf// 0000000070C4: 0B2120FA FF01580F
	v_mul_f32_dpp v145, v15, v145 row_newbcast:9 row_mask:0xf bank_mask:0xf// 0000000070CC: 0B2322FA FF01590F
	v_mul_f32_dpp v146, v15, v146 row_newbcast:10 row_mask:0xf bank_mask:0xf// 0000000070D4: 0B2524FA FF015A0F
	v_mul_f32_dpp v147, v15, v147 row_newbcast:11 row_mask:0xf bank_mask:0xf// 0000000070DC: 0B2726FA FF015B0F
	v_mul_f32_e32 v148, v14, v148                              // 0000000070E4: 0B29290E
	v_mul_f32_e32 v149, v14, v149                              // 0000000070E8: 0B2B2B0E
	v_mul_f32_e32 v150, v14, v150                              // 0000000070EC: 0B2D2D0E
	v_mul_f32_e32 v151, v14, v151                              // 0000000070F0: 0B2F2F0E
	v_mul_f32_dpp v148, v15, v148 row_newbcast:8 row_mask:0xf bank_mask:0xf// 0000000070F4: 0B2928FA FF01580F
	v_mul_f32_dpp v149, v15, v149 row_newbcast:9 row_mask:0xf bank_mask:0xf// 0000000070FC: 0B2B2AFA FF01590F
	v_mul_f32_dpp v150, v15, v150 row_newbcast:10 row_mask:0xf bank_mask:0xf// 000000007104: 0B2D2CFA FF015A0F
	v_mul_f32_dpp v151, v15, v151 row_newbcast:11 row_mask:0xf bank_mask:0xf// 00000000710C: 0B2F2EFA FF015B0F
	v_mul_f32_e32 v152, v13, v152                              // 000000007114: 0B31310D
	v_mul_f32_e32 v153, v13, v153                              // 000000007118: 0B33330D
	v_mul_f32_e32 v154, v13, v154                              // 00000000711C: 0B35350D
	v_mul_f32_e32 v155, v13, v155                              // 000000007120: 0B37370D
	v_mul_f32_dpp v152, v15, v152 row_newbcast:12 row_mask:0xf bank_mask:0xf// 000000007124: 0B3130FA FF015C0F
	v_mul_f32_dpp v153, v15, v153 row_newbcast:13 row_mask:0xf bank_mask:0xf// 00000000712C: 0B3332FA FF015D0F
	v_mul_f32_dpp v154, v15, v154 row_newbcast:14 row_mask:0xf bank_mask:0xf// 000000007134: 0B3534FA FF015E0F
	v_mul_f32_dpp v155, v15, v155 row_newbcast:15 row_mask:0xf bank_mask:0xf// 00000000713C: 0B3736FA FF015F0F
	v_mul_f32_e32 v156, v14, v156                              // 000000007144: 0B39390E
	v_mul_f32_e32 v157, v14, v157                              // 000000007148: 0B3B3B0E
	v_mul_f32_e32 v158, v14, v158                              // 00000000714C: 0B3D3D0E
	v_mul_f32_e32 v159, v14, v159                              // 000000007150: 0B3F3F0E
	v_mul_f32_dpp v156, v15, v156 row_newbcast:12 row_mask:0xf bank_mask:0xf// 000000007154: 0B3938FA FF015C0F
	v_mul_f32_dpp v157, v15, v157 row_newbcast:13 row_mask:0xf bank_mask:0xf// 00000000715C: 0B3B3AFA FF015D0F
	v_mul_f32_dpp v158, v15, v158 row_newbcast:14 row_mask:0xf bank_mask:0xf// 000000007164: 0B3D3CFA FF015E0F
	v_mul_f32_dpp v159, v15, v159 row_newbcast:15 row_mask:0xf bank_mask:0xf// 00000000716C: 0B3F3EFA FF015F0F
	v_mul_f32_e32 v64, v13, v64                                // 000000007174: 0A80810D
	v_mul_f32_e32 v65, v13, v65                                // 000000007178: 0A82830D
	v_mul_f32_e32 v66, v13, v66                                // 00000000717C: 0A84850D
	v_mul_f32_e32 v67, v13, v67                                // 000000007180: 0A86870D
	v_mul_f32_dpp v64, v44, v64 row_newbcast:0 row_mask:0xf bank_mask:0xf// 000000007184: 0A8080FA FF01502C
	v_mul_f32_dpp v65, v44, v65 row_newbcast:1 row_mask:0xf bank_mask:0xf// 00000000718C: 0A8282FA FF01512C
	v_mul_f32_dpp v66, v44, v66 row_newbcast:2 row_mask:0xf bank_mask:0xf// 000000007194: 0A8484FA FF01522C
	v_mul_f32_dpp v67, v44, v67 row_newbcast:3 row_mask:0xf bank_mask:0xf// 00000000719C: 0A8686FA FF01532C
	v_mul_f32_e32 v68, v14, v68                                // 0000000071A4: 0A88890E
	v_mul_f32_e32 v69, v14, v69                                // 0000000071A8: 0A8A8B0E
	v_mul_f32_e32 v70, v14, v70                                // 0000000071AC: 0A8C8D0E
	v_mul_f32_e32 v71, v14, v71                                // 0000000071B0: 0A8E8F0E
	v_mul_f32_dpp v68, v44, v68 row_newbcast:0 row_mask:0xf bank_mask:0xf// 0000000071B4: 0A8888FA FF01502C
	v_mul_f32_dpp v69, v44, v69 row_newbcast:1 row_mask:0xf bank_mask:0xf// 0000000071BC: 0A8A8AFA FF01512C
	v_mul_f32_dpp v70, v44, v70 row_newbcast:2 row_mask:0xf bank_mask:0xf// 0000000071C4: 0A8C8CFA FF01522C
	v_mul_f32_dpp v71, v44, v71 row_newbcast:3 row_mask:0xf bank_mask:0xf// 0000000071CC: 0A8E8EFA FF01532C
	v_mul_f32_e32 v72, v13, v72                                // 0000000071D4: 0A90910D
	v_mul_f32_e32 v73, v13, v73                                // 0000000071D8: 0A92930D
	v_mul_f32_e32 v74, v13, v74                                // 0000000071DC: 0A94950D
	v_mul_f32_e32 v75, v13, v75                                // 0000000071E0: 0A96970D
	v_mul_f32_dpp v72, v44, v72 row_newbcast:4 row_mask:0xf bank_mask:0xf// 0000000071E4: 0A9090FA FF01542C
	v_mul_f32_dpp v73, v44, v73 row_newbcast:5 row_mask:0xf bank_mask:0xf// 0000000071EC: 0A9292FA FF01552C
	v_mul_f32_dpp v74, v44, v74 row_newbcast:6 row_mask:0xf bank_mask:0xf// 0000000071F4: 0A9494FA FF01562C
	v_mul_f32_dpp v75, v44, v75 row_newbcast:7 row_mask:0xf bank_mask:0xf// 0000000071FC: 0A9696FA FF01572C
	v_mul_f32_e32 v76, v14, v76                                // 000000007204: 0A98990E
	v_mul_f32_e32 v77, v14, v77                                // 000000007208: 0A9A9B0E
	v_mul_f32_e32 v78, v14, v78                                // 00000000720C: 0A9C9D0E
	v_mul_f32_e32 v79, v14, v79                                // 000000007210: 0A9E9F0E
	v_mul_f32_dpp v76, v44, v76 row_newbcast:4 row_mask:0xf bank_mask:0xf// 000000007214: 0A9898FA FF01542C
	v_mul_f32_dpp v77, v44, v77 row_newbcast:5 row_mask:0xf bank_mask:0xf// 00000000721C: 0A9A9AFA FF01552C
	v_mul_f32_dpp v78, v44, v78 row_newbcast:6 row_mask:0xf bank_mask:0xf// 000000007224: 0A9C9CFA FF01562C
	v_mul_f32_dpp v79, v44, v79 row_newbcast:7 row_mask:0xf bank_mask:0xf// 00000000722C: 0A9E9EFA FF01572C
	v_mul_f32_e32 v80, v13, v80                                // 000000007234: 0AA0A10D
	v_mul_f32_e32 v81, v13, v81                                // 000000007238: 0AA2A30D
	v_mul_f32_e32 v82, v13, v82                                // 00000000723C: 0AA4A50D
	v_mul_f32_e32 v83, v13, v83                                // 000000007240: 0AA6A70D
	v_mul_f32_dpp v80, v44, v80 row_newbcast:8 row_mask:0xf bank_mask:0xf// 000000007244: 0AA0A0FA FF01582C
	v_mul_f32_dpp v81, v44, v81 row_newbcast:9 row_mask:0xf bank_mask:0xf// 00000000724C: 0AA2A2FA FF01592C
	v_mul_f32_dpp v82, v44, v82 row_newbcast:10 row_mask:0xf bank_mask:0xf// 000000007254: 0AA4A4FA FF015A2C
	v_mul_f32_dpp v83, v44, v83 row_newbcast:11 row_mask:0xf bank_mask:0xf// 00000000725C: 0AA6A6FA FF015B2C
	v_mul_f32_e32 v84, v14, v84                                // 000000007264: 0AA8A90E
	v_mul_f32_e32 v85, v14, v85                                // 000000007268: 0AAAAB0E
	v_mul_f32_e32 v86, v14, v86                                // 00000000726C: 0AACAD0E
	v_mul_f32_e32 v87, v14, v87                                // 000000007270: 0AAEAF0E
	v_mul_f32_dpp v84, v44, v84 row_newbcast:8 row_mask:0xf bank_mask:0xf// 000000007274: 0AA8A8FA FF01582C
	v_mul_f32_dpp v85, v44, v85 row_newbcast:9 row_mask:0xf bank_mask:0xf// 00000000727C: 0AAAAAFA FF01592C
	v_mul_f32_dpp v86, v44, v86 row_newbcast:10 row_mask:0xf bank_mask:0xf// 000000007284: 0AACACFA FF015A2C
	v_mul_f32_dpp v87, v44, v87 row_newbcast:11 row_mask:0xf bank_mask:0xf// 00000000728C: 0AAEAEFA FF015B2C
	v_mul_f32_e32 v88, v13, v88                                // 000000007294: 0AB0B10D
	v_mul_f32_e32 v89, v13, v89                                // 000000007298: 0AB2B30D
	v_mul_f32_e32 v90, v13, v90                                // 00000000729C: 0AB4B50D
	v_mul_f32_e32 v91, v13, v91                                // 0000000072A0: 0AB6B70D
	v_mul_f32_dpp v88, v44, v88 row_newbcast:12 row_mask:0xf bank_mask:0xf// 0000000072A4: 0AB0B0FA FF015C2C
	v_mul_f32_dpp v89, v44, v89 row_newbcast:13 row_mask:0xf bank_mask:0xf// 0000000072AC: 0AB2B2FA FF015D2C
	v_mul_f32_dpp v90, v44, v90 row_newbcast:14 row_mask:0xf bank_mask:0xf// 0000000072B4: 0AB4B4FA FF015E2C
	v_mul_f32_dpp v91, v44, v91 row_newbcast:15 row_mask:0xf bank_mask:0xf// 0000000072BC: 0AB6B6FA FF015F2C
	v_mul_f32_e32 v92, v14, v92                                // 0000000072C4: 0AB8B90E
	v_mul_f32_e32 v93, v14, v93                                // 0000000072C8: 0ABABB0E
	v_mul_f32_e32 v94, v14, v94                                // 0000000072CC: 0ABCBD0E
	v_mul_f32_e32 v95, v14, v95                                // 0000000072D0: 0ABEBF0E
	v_mul_f32_dpp v92, v44, v92 row_newbcast:12 row_mask:0xf bank_mask:0xf// 0000000072D4: 0AB8B8FA FF015C2C
	v_mul_f32_dpp v93, v44, v93 row_newbcast:13 row_mask:0xf bank_mask:0xf// 0000000072DC: 0ABABAFA FF015D2C
	v_mul_f32_dpp v94, v44, v94 row_newbcast:14 row_mask:0xf bank_mask:0xf// 0000000072E4: 0ABCBCFA FF015E2C
	v_mul_f32_dpp v95, v44, v95 row_newbcast:15 row_mask:0xf bank_mask:0xf// 0000000072EC: 0ABEBEFA FF015F2C
	s_waitcnt vmcnt(12)                                        // 0000000072F4: BF8C0F7C
	buffer_load_dwordx4 a[0:3], v36, s[12:15], 0 offen         // 0000000072F8: E05C1000 80830024
	v_mul_f32_e32 v46, v128, v128                              // 000000007300: 0A5D0180
	v_mul_f32_e32 v47, v129, v129                              // 000000007304: 0A5F0381
	v_mul_f32_e32 v48, v130, v130                              // 000000007308: 0A610582
	v_mul_f32_e32 v49, v131, v131                              // 00000000730C: 0A630783
	v_fma_f32 v46, v46, s77, v1                                // 000000007310: D1CB002E 04049B2E
	v_fma_f32 v47, v47, s77, v1                                // 000000007318: D1CB002F 04049B2F
	v_fma_f32 v48, v48, s77, v1                                // 000000007320: D1CB0030 04049B30
	v_fma_f32 v49, v49, s77, v1                                // 000000007328: D1CB0031 04049B31
	v_mul_f32_e32 v46, v46, v128                               // 000000007330: 0A5D012E
	v_mul_f32_e32 v47, v47, v129                               // 000000007334: 0A5F032F
	v_mul_f32_e32 v48, v48, v130                               // 000000007338: 0A610530
	v_mul_f32_e32 v49, v49, v131                               // 00000000733C: 0A630731
	v_mul_f32_e64 v46, v46, s6                                 // 000000007340: D105002E 00000D2E
	v_mul_f32_e64 v47, v47, s6                                 // 000000007348: D105002F 00000D2F
	v_mul_f32_e64 v48, v48, s6                                 // 000000007350: D1050030 00000D30
	v_mul_f32_e64 v49, v49, s6                                 // 000000007358: D1050031 00000D31
	v_exp_f32_e32 v46, v46                                     // 000000007360: 7E5C412E
	v_exp_f32_e32 v47, v47                                     // 000000007364: 7E5E412F
	v_exp_f32_e32 v48, v48                                     // 000000007368: 7E604130
	v_exp_f32_e32 v49, v49                                     // 00000000736C: 7E624131
	buffer_load_dwordx4 a[4:7], v37, s[12:15], 0 offen         // 000000007370: E05C1000 80830425
	v_add_f32_e64 v46, v46, 1.0                                // 000000007378: D101002E 0001E52E
	v_add_f32_e64 v47, v47, 1.0                                // 000000007380: D101002F 0001E52F
	v_add_f32_e64 v48, v48, 1.0                                // 000000007388: D1010030 0001E530
	v_add_f32_e64 v49, v49, 1.0                                // 000000007390: D1010031 0001E531
	v_rcp_f32_e32 v46, v46                                     // 000000007398: 7E5C452E
	v_rcp_f32_e32 v47, v47                                     // 00000000739C: 7E5E452F
	v_rcp_f32_e32 v48, v48                                     // 0000000073A0: 7E604530
	v_rcp_f32_e32 v49, v49                                     // 0000000073A4: 7E624531
	v_mul_f32_e32 v128, v128, v46                              // 0000000073A8: 0B005D80
	v_mul_f32_e32 v129, v129, v47                              // 0000000073AC: 0B025F81
	v_mul_f32_e32 v130, v130, v48                              // 0000000073B0: 0B046182
	v_mul_f32_e32 v131, v131, v49                              // 0000000073B4: 0B066383
	v_mul_f32_e32 v128, v128, v64                              // 0000000073B8: 0B008180
	v_mul_f32_e32 v129, v129, v65                              // 0000000073BC: 0B028381
	v_mul_f32_e32 v130, v130, v66                              // 0000000073C0: 0B048582
	v_mul_f32_e32 v131, v131, v67                              // 0000000073C4: 0B068783
	buffer_load_dwordx4 a[8:11], v38, s[12:15], 0 offen        // 0000000073C8: E05C1000 80830826
	v_mul_f32_e32 v46, v132, v132                              // 0000000073D0: 0A5D0984
	v_mul_f32_e32 v47, v133, v133                              // 0000000073D4: 0A5F0B85
	v_mul_f32_e32 v48, v134, v134                              // 0000000073D8: 0A610D86
	v_mul_f32_e32 v49, v135, v135                              // 0000000073DC: 0A630F87
	v_fma_f32 v46, v46, s77, v1                                // 0000000073E0: D1CB002E 04049B2E
	v_fma_f32 v47, v47, s77, v1                                // 0000000073E8: D1CB002F 04049B2F
	v_fma_f32 v48, v48, s77, v1                                // 0000000073F0: D1CB0030 04049B30
	v_fma_f32 v49, v49, s77, v1                                // 0000000073F8: D1CB0031 04049B31
	v_mul_f32_e32 v46, v46, v132                               // 000000007400: 0A5D092E
	v_mul_f32_e32 v47, v47, v133                               // 000000007404: 0A5F0B2F
	v_mul_f32_e32 v48, v48, v134                               // 000000007408: 0A610D30
	v_mul_f32_e32 v49, v49, v135                               // 00000000740C: 0A630F31
	v_mul_f32_e64 v46, v46, s6                                 // 000000007410: D105002E 00000D2E
	v_mul_f32_e64 v47, v47, s6                                 // 000000007418: D105002F 00000D2F
	v_mul_f32_e64 v48, v48, s6                                 // 000000007420: D1050030 00000D30
	v_mul_f32_e64 v49, v49, s6                                 // 000000007428: D1050031 00000D31
	v_exp_f32_e32 v46, v46                                     // 000000007430: 7E5C412E
	v_exp_f32_e32 v47, v47                                     // 000000007434: 7E5E412F
	v_exp_f32_e32 v48, v48                                     // 000000007438: 7E604130
	v_exp_f32_e32 v49, v49                                     // 00000000743C: 7E624131
	buffer_load_dwordx4 a[12:15], v39, s[12:15], 0 offen       // 000000007440: E05C1000 80830C27
	s_add_u32 s12, s78, s12                                    // 000000007448: 800C0C4E
	s_addc_u32 s13, 0, s13                                     // 00000000744C: 820D0D80
	v_add_f32_e64 v46, v46, 1.0                                // 000000007450: D101002E 0001E52E
	v_add_f32_e64 v47, v47, 1.0                                // 000000007458: D101002F 0001E52F
	v_add_f32_e64 v48, v48, 1.0                                // 000000007460: D1010030 0001E530
	v_add_f32_e64 v49, v49, 1.0                                // 000000007468: D1010031 0001E531
	v_rcp_f32_e32 v46, v46                                     // 000000007470: 7E5C452E
	v_rcp_f32_e32 v47, v47                                     // 000000007474: 7E5E452F
	v_rcp_f32_e32 v48, v48                                     // 000000007478: 7E604530
	v_rcp_f32_e32 v49, v49                                     // 00000000747C: 7E624531
	v_mul_f32_e32 v132, v132, v46                              // 000000007480: 0B085D84
	v_mul_f32_e32 v133, v133, v47                              // 000000007484: 0B0A5F85
	v_mul_f32_e32 v134, v134, v48                              // 000000007488: 0B0C6186
	v_mul_f32_e32 v135, v135, v49                              // 00000000748C: 0B0E6387
	v_mul_f32_e32 v132, v132, v68                              // 000000007490: 0B088984
	v_mul_f32_e32 v133, v133, v69                              // 000000007494: 0B0A8B85
	v_mul_f32_e32 v134, v134, v70                              // 000000007498: 0B0C8D86
	v_mul_f32_e32 v135, v135, v71                              // 00000000749C: 0B0E8F87
	s_waitcnt vmcnt(12)                                        // 0000000074A0: BF8C0F7C
	buffer_load_dwordx4 a[16:19], v36, s[12:15], 0 offen       // 0000000074A4: E05C1000 80831024
	v_mul_f32_e32 v46, v136, v136                              // 0000000074AC: 0A5D1188
	v_mul_f32_e32 v47, v137, v137                              // 0000000074B0: 0A5F1389
	v_mul_f32_e32 v48, v138, v138                              // 0000000074B4: 0A61158A
	v_mul_f32_e32 v49, v139, v139                              // 0000000074B8: 0A63178B
	v_fma_f32 v46, v46, s77, v1                                // 0000000074BC: D1CB002E 04049B2E
	v_fma_f32 v47, v47, s77, v1                                // 0000000074C4: D1CB002F 04049B2F
	v_fma_f32 v48, v48, s77, v1                                // 0000000074CC: D1CB0030 04049B30
	v_fma_f32 v49, v49, s77, v1                                // 0000000074D4: D1CB0031 04049B31
	v_mul_f32_e32 v46, v46, v136                               // 0000000074DC: 0A5D112E
	v_mul_f32_e32 v47, v47, v137                               // 0000000074E0: 0A5F132F
	v_mul_f32_e32 v48, v48, v138                               // 0000000074E4: 0A611530
	v_mul_f32_e32 v49, v49, v139                               // 0000000074E8: 0A631731
	v_mul_f32_e64 v46, v46, s6                                 // 0000000074EC: D105002E 00000D2E
	v_mul_f32_e64 v47, v47, s6                                 // 0000000074F4: D105002F 00000D2F
	v_mul_f32_e64 v48, v48, s6                                 // 0000000074FC: D1050030 00000D30
	v_mul_f32_e64 v49, v49, s6                                 // 000000007504: D1050031 00000D31
	v_exp_f32_e32 v46, v46                                     // 00000000750C: 7E5C412E
	v_exp_f32_e32 v47, v47                                     // 000000007510: 7E5E412F
	v_exp_f32_e32 v48, v48                                     // 000000007514: 7E604130
	v_exp_f32_e32 v49, v49                                     // 000000007518: 7E624131
	buffer_load_dwordx4 a[20:23], v37, s[12:15], 0 offen       // 00000000751C: E05C1000 80831425
	v_add_f32_e64 v46, v46, 1.0                                // 000000007524: D101002E 0001E52E
	v_add_f32_e64 v47, v47, 1.0                                // 00000000752C: D101002F 0001E52F
	v_add_f32_e64 v48, v48, 1.0                                // 000000007534: D1010030 0001E530
	v_add_f32_e64 v49, v49, 1.0                                // 00000000753C: D1010031 0001E531
	v_rcp_f32_e32 v46, v46                                     // 000000007544: 7E5C452E
	v_rcp_f32_e32 v47, v47                                     // 000000007548: 7E5E452F
	v_rcp_f32_e32 v48, v48                                     // 00000000754C: 7E604530
	v_rcp_f32_e32 v49, v49                                     // 000000007550: 7E624531
	v_mul_f32_e32 v136, v136, v46                              // 000000007554: 0B105D88
	v_mul_f32_e32 v137, v137, v47                              // 000000007558: 0B125F89
	v_mul_f32_e32 v138, v138, v48                              // 00000000755C: 0B14618A
	v_mul_f32_e32 v139, v139, v49                              // 000000007560: 0B16638B
	v_mul_f32_e32 v136, v136, v72                              // 000000007564: 0B109188
	v_mul_f32_e32 v137, v137, v73                              // 000000007568: 0B129389
	v_mul_f32_e32 v138, v138, v74                              // 00000000756C: 0B14958A
	v_mul_f32_e32 v139, v139, v75                              // 000000007570: 0B16978B
	buffer_load_dwordx4 a[24:27], v38, s[12:15], 0 offen       // 000000007574: E05C1000 80831826
	v_mul_f32_e32 v46, v140, v140                              // 00000000757C: 0A5D198C
	v_mul_f32_e32 v47, v141, v141                              // 000000007580: 0A5F1B8D
	v_mul_f32_e32 v48, v142, v142                              // 000000007584: 0A611D8E
	v_mul_f32_e32 v49, v143, v143                              // 000000007588: 0A631F8F
	v_fma_f32 v46, v46, s77, v1                                // 00000000758C: D1CB002E 04049B2E
	v_fma_f32 v47, v47, s77, v1                                // 000000007594: D1CB002F 04049B2F
	v_fma_f32 v48, v48, s77, v1                                // 00000000759C: D1CB0030 04049B30
	v_fma_f32 v49, v49, s77, v1                                // 0000000075A4: D1CB0031 04049B31
	v_mul_f32_e32 v46, v46, v140                               // 0000000075AC: 0A5D192E
	v_mul_f32_e32 v47, v47, v141                               // 0000000075B0: 0A5F1B2F
	v_mul_f32_e32 v48, v48, v142                               // 0000000075B4: 0A611D30
	v_mul_f32_e32 v49, v49, v143                               // 0000000075B8: 0A631F31
	v_mul_f32_e64 v46, v46, s6                                 // 0000000075BC: D105002E 00000D2E
	v_mul_f32_e64 v47, v47, s6                                 // 0000000075C4: D105002F 00000D2F
	v_mul_f32_e64 v48, v48, s6                                 // 0000000075CC: D1050030 00000D30
	v_mul_f32_e64 v49, v49, s6                                 // 0000000075D4: D1050031 00000D31
	v_exp_f32_e32 v46, v46                                     // 0000000075DC: 7E5C412E
	v_exp_f32_e32 v47, v47                                     // 0000000075E0: 7E5E412F
	v_exp_f32_e32 v48, v48                                     // 0000000075E4: 7E604130
	v_exp_f32_e32 v49, v49                                     // 0000000075E8: 7E624131
	buffer_load_dwordx4 a[28:31], v39, s[12:15], 0 offen       // 0000000075EC: E05C1000 80831C27
	s_add_u32 s12, s78, s12                                    // 0000000075F4: 800C0C4E
	s_addc_u32 s13, 0, s13                                     // 0000000075F8: 820D0D80
	v_add_f32_e64 v46, v46, 1.0                                // 0000000075FC: D101002E 0001E52E
	v_add_f32_e64 v47, v47, 1.0                                // 000000007604: D101002F 0001E52F
	v_add_f32_e64 v48, v48, 1.0                                // 00000000760C: D1010030 0001E530
	v_add_f32_e64 v49, v49, 1.0                                // 000000007614: D1010031 0001E531
	v_rcp_f32_e32 v46, v46                                     // 00000000761C: 7E5C452E
	v_rcp_f32_e32 v47, v47                                     // 000000007620: 7E5E452F
	v_rcp_f32_e32 v48, v48                                     // 000000007624: 7E604530
	v_rcp_f32_e32 v49, v49                                     // 000000007628: 7E624531
	v_mul_f32_e32 v140, v140, v46                              // 00000000762C: 0B185D8C
	v_mul_f32_e32 v141, v141, v47                              // 000000007630: 0B1A5F8D
	v_mul_f32_e32 v142, v142, v48                              // 000000007634: 0B1C618E
	v_mul_f32_e32 v143, v143, v49                              // 000000007638: 0B1E638F
	v_mul_f32_e32 v140, v140, v76                              // 00000000763C: 0B18998C
	v_mul_f32_e32 v141, v141, v77                              // 000000007640: 0B1A9B8D
	v_mul_f32_e32 v142, v142, v78                              // 000000007644: 0B1C9D8E
	v_mul_f32_e32 v143, v143, v79                              // 000000007648: 0B1E9F8F
	s_waitcnt vmcnt(12)                                        // 00000000764C: BF8C0F7C
	buffer_load_dwordx4 a[32:35], v36, s[12:15], 0 offen       // 000000007650: E05C1000 80832024
	v_mul_f32_e32 v46, v144, v144                              // 000000007658: 0A5D2190
	v_mul_f32_e32 v47, v145, v145                              // 00000000765C: 0A5F2391
	v_mul_f32_e32 v48, v146, v146                              // 000000007660: 0A612592
	v_mul_f32_e32 v49, v147, v147                              // 000000007664: 0A632793
	v_fma_f32 v46, v46, s77, v1                                // 000000007668: D1CB002E 04049B2E
	v_fma_f32 v47, v47, s77, v1                                // 000000007670: D1CB002F 04049B2F
	v_fma_f32 v48, v48, s77, v1                                // 000000007678: D1CB0030 04049B30
	v_fma_f32 v49, v49, s77, v1                                // 000000007680: D1CB0031 04049B31
	v_mul_f32_e32 v46, v46, v144                               // 000000007688: 0A5D212E
	v_mul_f32_e32 v47, v47, v145                               // 00000000768C: 0A5F232F
	v_mul_f32_e32 v48, v48, v146                               // 000000007690: 0A612530
	v_mul_f32_e32 v49, v49, v147                               // 000000007694: 0A632731
	v_mul_f32_e64 v46, v46, s6                                 // 000000007698: D105002E 00000D2E
	v_mul_f32_e64 v47, v47, s6                                 // 0000000076A0: D105002F 00000D2F
	v_mul_f32_e64 v48, v48, s6                                 // 0000000076A8: D1050030 00000D30
	v_mul_f32_e64 v49, v49, s6                                 // 0000000076B0: D1050031 00000D31
	v_exp_f32_e32 v46, v46                                     // 0000000076B8: 7E5C412E
	v_exp_f32_e32 v47, v47                                     // 0000000076BC: 7E5E412F
	v_exp_f32_e32 v48, v48                                     // 0000000076C0: 7E604130
	v_exp_f32_e32 v49, v49                                     // 0000000076C4: 7E624131
	buffer_load_dwordx4 a[36:39], v37, s[12:15], 0 offen       // 0000000076C8: E05C1000 80832425
	v_add_f32_e64 v46, v46, 1.0                                // 0000000076D0: D101002E 0001E52E
	v_add_f32_e64 v47, v47, 1.0                                // 0000000076D8: D101002F 0001E52F
	v_add_f32_e64 v48, v48, 1.0                                // 0000000076E0: D1010030 0001E530
	v_add_f32_e64 v49, v49, 1.0                                // 0000000076E8: D1010031 0001E531
	v_rcp_f32_e32 v46, v46                                     // 0000000076F0: 7E5C452E
	v_rcp_f32_e32 v47, v47                                     // 0000000076F4: 7E5E452F
	v_rcp_f32_e32 v48, v48                                     // 0000000076F8: 7E604530
	v_rcp_f32_e32 v49, v49                                     // 0000000076FC: 7E624531
	v_mul_f32_e32 v144, v144, v46                              // 000000007700: 0B205D90
	v_mul_f32_e32 v145, v145, v47                              // 000000007704: 0B225F91
	v_mul_f32_e32 v146, v146, v48                              // 000000007708: 0B246192
	v_mul_f32_e32 v147, v147, v49                              // 00000000770C: 0B266393
	v_mul_f32_e32 v144, v144, v80                              // 000000007710: 0B20A190
	v_mul_f32_e32 v145, v145, v81                              // 000000007714: 0B22A391
	v_mul_f32_e32 v146, v146, v82                              // 000000007718: 0B24A592
	v_mul_f32_e32 v147, v147, v83                              // 00000000771C: 0B26A793
	buffer_load_dwordx4 a[40:43], v38, s[12:15], 0 offen       // 000000007720: E05C1000 80832826
	v_mul_f32_e32 v46, v148, v148                              // 000000007728: 0A5D2994
	v_mul_f32_e32 v47, v149, v149                              // 00000000772C: 0A5F2B95
	v_mul_f32_e32 v48, v150, v150                              // 000000007730: 0A612D96
	v_mul_f32_e32 v49, v151, v151                              // 000000007734: 0A632F97
	v_fma_f32 v46, v46, s77, v1                                // 000000007738: D1CB002E 04049B2E
	v_fma_f32 v47, v47, s77, v1                                // 000000007740: D1CB002F 04049B2F
	v_fma_f32 v48, v48, s77, v1                                // 000000007748: D1CB0030 04049B30
	v_fma_f32 v49, v49, s77, v1                                // 000000007750: D1CB0031 04049B31
	v_mul_f32_e32 v46, v46, v148                               // 000000007758: 0A5D292E
	v_mul_f32_e32 v47, v47, v149                               // 00000000775C: 0A5F2B2F
	v_mul_f32_e32 v48, v48, v150                               // 000000007760: 0A612D30
	v_mul_f32_e32 v49, v49, v151                               // 000000007764: 0A632F31
	v_mul_f32_e64 v46, v46, s6                                 // 000000007768: D105002E 00000D2E
	v_mul_f32_e64 v47, v47, s6                                 // 000000007770: D105002F 00000D2F
	v_mul_f32_e64 v48, v48, s6                                 // 000000007778: D1050030 00000D30
	v_mul_f32_e64 v49, v49, s6                                 // 000000007780: D1050031 00000D31
	v_exp_f32_e32 v46, v46                                     // 000000007788: 7E5C412E
	v_exp_f32_e32 v47, v47                                     // 00000000778C: 7E5E412F
	v_exp_f32_e32 v48, v48                                     // 000000007790: 7E604130
	v_exp_f32_e32 v49, v49                                     // 000000007794: 7E624131
	buffer_load_dwordx4 a[44:47], v39, s[12:15], 0 offen       // 000000007798: E05C1000 80832C27
	s_add_u32 s12, s78, s12                                    // 0000000077A0: 800C0C4E
	s_addc_u32 s13, 0, s13                                     // 0000000077A4: 820D0D80
	v_add_f32_e64 v46, v46, 1.0                                // 0000000077A8: D101002E 0001E52E
	v_add_f32_e64 v47, v47, 1.0                                // 0000000077B0: D101002F 0001E52F
	v_add_f32_e64 v48, v48, 1.0                                // 0000000077B8: D1010030 0001E530
	v_add_f32_e64 v49, v49, 1.0                                // 0000000077C0: D1010031 0001E531
	v_rcp_f32_e32 v46, v46                                     // 0000000077C8: 7E5C452E
	v_rcp_f32_e32 v47, v47                                     // 0000000077CC: 7E5E452F
	v_rcp_f32_e32 v48, v48                                     // 0000000077D0: 7E604530
	v_rcp_f32_e32 v49, v49                                     // 0000000077D4: 7E624531
	v_mul_f32_e32 v148, v148, v46                              // 0000000077D8: 0B285D94
	v_mul_f32_e32 v149, v149, v47                              // 0000000077DC: 0B2A5F95
	v_mul_f32_e32 v150, v150, v48                              // 0000000077E0: 0B2C6196
	v_mul_f32_e32 v151, v151, v49                              // 0000000077E4: 0B2E6397
	v_mul_f32_e32 v148, v148, v84                              // 0000000077E8: 0B28A994
	v_mul_f32_e32 v149, v149, v85                              // 0000000077EC: 0B2AAB95
	v_mul_f32_e32 v150, v150, v86                              // 0000000077F0: 0B2CAD96
	v_mul_f32_e32 v151, v151, v87                              // 0000000077F4: 0B2EAF97
	s_waitcnt vmcnt(12)                                        // 0000000077F8: BF8C0F7C
	buffer_load_dwordx4 a[48:51], v36, s[12:15], 0 offen       // 0000000077FC: E05C1000 80833024
	v_mul_f32_e32 v46, v152, v152                              // 000000007804: 0A5D3198
	v_mul_f32_e32 v47, v153, v153                              // 000000007808: 0A5F3399
	v_mul_f32_e32 v48, v154, v154                              // 00000000780C: 0A61359A
	v_mul_f32_e32 v49, v155, v155                              // 000000007810: 0A63379B
	v_fma_f32 v46, v46, s77, v1                                // 000000007814: D1CB002E 04049B2E
	v_fma_f32 v47, v47, s77, v1                                // 00000000781C: D1CB002F 04049B2F
	v_fma_f32 v48, v48, s77, v1                                // 000000007824: D1CB0030 04049B30
	v_fma_f32 v49, v49, s77, v1                                // 00000000782C: D1CB0031 04049B31
	v_mul_f32_e32 v46, v46, v152                               // 000000007834: 0A5D312E
	v_mul_f32_e32 v47, v47, v153                               // 000000007838: 0A5F332F
	v_mul_f32_e32 v48, v48, v154                               // 00000000783C: 0A613530
	v_mul_f32_e32 v49, v49, v155                               // 000000007840: 0A633731
	v_mul_f32_e64 v46, v46, s6                                 // 000000007844: D105002E 00000D2E
	v_mul_f32_e64 v47, v47, s6                                 // 00000000784C: D105002F 00000D2F
	v_mul_f32_e64 v48, v48, s6                                 // 000000007854: D1050030 00000D30
	v_mul_f32_e64 v49, v49, s6                                 // 00000000785C: D1050031 00000D31
	v_exp_f32_e32 v46, v46                                     // 000000007864: 7E5C412E
	v_exp_f32_e32 v47, v47                                     // 000000007868: 7E5E412F
	v_exp_f32_e32 v48, v48                                     // 00000000786C: 7E604130
	v_exp_f32_e32 v49, v49                                     // 000000007870: 7E624131
	buffer_load_dwordx4 a[52:55], v37, s[12:15], 0 offen       // 000000007874: E05C1000 80833425
	v_add_f32_e64 v46, v46, 1.0                                // 00000000787C: D101002E 0001E52E
	v_add_f32_e64 v47, v47, 1.0                                // 000000007884: D101002F 0001E52F
	v_add_f32_e64 v48, v48, 1.0                                // 00000000788C: D1010030 0001E530
	v_add_f32_e64 v49, v49, 1.0                                // 000000007894: D1010031 0001E531
	v_rcp_f32_e32 v46, v46                                     // 00000000789C: 7E5C452E
	v_rcp_f32_e32 v47, v47                                     // 0000000078A0: 7E5E452F
	v_rcp_f32_e32 v48, v48                                     // 0000000078A4: 7E604530
	v_rcp_f32_e32 v49, v49                                     // 0000000078A8: 7E624531
	v_mul_f32_e32 v152, v152, v46                              // 0000000078AC: 0B305D98
	v_mul_f32_e32 v153, v153, v47                              // 0000000078B0: 0B325F99
	v_mul_f32_e32 v154, v154, v48                              // 0000000078B4: 0B34619A
	v_mul_f32_e32 v155, v155, v49                              // 0000000078B8: 0B36639B
	v_mul_f32_e32 v152, v152, v88                              // 0000000078BC: 0B30B198
	v_mul_f32_e32 v153, v153, v89                              // 0000000078C0: 0B32B399
	v_mul_f32_e32 v154, v154, v90                              // 0000000078C4: 0B34B59A
	v_mul_f32_e32 v155, v155, v91                              // 0000000078C8: 0B36B79B
	buffer_load_dwordx4 a[56:59], v38, s[12:15], 0 offen       // 0000000078CC: E05C1000 80833826
	v_mul_f32_e32 v46, v156, v156                              // 0000000078D4: 0A5D399C
	v_mul_f32_e32 v47, v157, v157                              // 0000000078D8: 0A5F3B9D
	v_mul_f32_e32 v48, v158, v158                              // 0000000078DC: 0A613D9E
	v_mul_f32_e32 v49, v159, v159                              // 0000000078E0: 0A633F9F
	v_fma_f32 v46, v46, s77, v1                                // 0000000078E4: D1CB002E 04049B2E
	v_fma_f32 v47, v47, s77, v1                                // 0000000078EC: D1CB002F 04049B2F
	v_fma_f32 v48, v48, s77, v1                                // 0000000078F4: D1CB0030 04049B30
	v_fma_f32 v49, v49, s77, v1                                // 0000000078FC: D1CB0031 04049B31
	v_mul_f32_e32 v46, v46, v156                               // 000000007904: 0A5D392E
	v_mul_f32_e32 v47, v47, v157                               // 000000007908: 0A5F3B2F
	v_mul_f32_e32 v48, v48, v158                               // 00000000790C: 0A613D30
	v_mul_f32_e32 v49, v49, v159                               // 000000007910: 0A633F31
	v_mul_f32_e64 v46, v46, s6                                 // 000000007914: D105002E 00000D2E
	v_mul_f32_e64 v47, v47, s6                                 // 00000000791C: D105002F 00000D2F
	v_mul_f32_e64 v48, v48, s6                                 // 000000007924: D1050030 00000D30
	v_mul_f32_e64 v49, v49, s6                                 // 00000000792C: D1050031 00000D31
	v_exp_f32_e32 v46, v46                                     // 000000007934: 7E5C412E
	v_exp_f32_e32 v47, v47                                     // 000000007938: 7E5E412F
	v_exp_f32_e32 v48, v48                                     // 00000000793C: 7E604130
	v_exp_f32_e32 v49, v49                                     // 000000007940: 7E624131
	buffer_load_dwordx4 a[60:63], v39, s[12:15], 0 offen       // 000000007944: E05C1000 80833C27
	v_add_f32_e64 v46, v46, 1.0                                // 00000000794C: D101002E 0001E52E
	v_add_f32_e64 v47, v47, 1.0                                // 000000007954: D101002F 0001E52F
	v_add_f32_e64 v48, v48, 1.0                                // 00000000795C: D1010030 0001E530
	v_add_f32_e64 v49, v49, 1.0                                // 000000007964: D1010031 0001E531
	v_rcp_f32_e32 v46, v46                                     // 00000000796C: 7E5C452E
	v_rcp_f32_e32 v47, v47                                     // 000000007970: 7E5E452F
	v_rcp_f32_e32 v48, v48                                     // 000000007974: 7E604530
	v_rcp_f32_e32 v49, v49                                     // 000000007978: 7E624531
	v_mul_f32_e32 v156, v156, v46                              // 00000000797C: 0B385D9C
	v_mul_f32_e32 v157, v157, v47                              // 000000007980: 0B3A5F9D
	v_mul_f32_e32 v158, v158, v48                              // 000000007984: 0B3C619E
	v_mul_f32_e32 v159, v159, v49                              // 000000007988: 0B3E639F
	v_mul_f32_e32 v156, v156, v92                              // 00000000798C: 0B38B99C
	v_mul_f32_e32 v157, v157, v93                              // 000000007990: 0B3ABB9D
	v_mul_f32_e32 v158, v158, v94                              // 000000007994: 0B3CBD9E
	v_mul_f32_e32 v159, v159, v95                              // 000000007998: 0B3EBF9F
	v_lshlrev_b32_e32 v46, 2, v0                               // 00000000799C: 245C0082
	s_mul_i32 s60, s82, s71                                    // 0000000079A0: 923C4752
	v_add_u32_e64 v80, v46, s60                                // 0000000079A4: D1340050 0000792E
	v_mov_b32_e32 v81, 0                                       // 0000000079AC: 7EA20280
	s_mul_i32 s60, s83, s71                                    // 0000000079B0: 923C4753
	v_add_u32_e64 v82, v46, s60                                // 0000000079B4: D1340052 0000792E
	v_mov_b32_e32 v83, 0                                       // 0000000079BC: 7EA60280
	s_mul_i32 s60, s84, s71                                    // 0000000079C0: 923C4754
	v_add_u32_e64 v84, v46, s60                                // 0000000079C4: D1340054 0000792E
	v_mov_b32_e32 v85, 0                                       // 0000000079CC: 7EAA0280
	s_mul_i32 s60, s85, s71                                    // 0000000079D0: 923C4755
	v_add_u32_e64 v86, v46, s60                                // 0000000079D4: D1340056 0000792E
	v_mov_b32_e32 v87, 0                                       // 0000000079DC: 7EAE0280
	s_mul_i32 s60, s86, s71                                    // 0000000079E0: 923C4756
	v_add_u32_e64 v88, v46, s60                                // 0000000079E4: D1340058 0000792E
	v_mov_b32_e32 v89, 0                                       // 0000000079EC: 7EB20280
	s_mul_i32 s60, s87, s71                                    // 0000000079F0: 923C4757
	v_add_u32_e64 v90, v46, s60                                // 0000000079F4: D134005A 0000792E
	v_mov_b32_e32 v91, 0                                       // 0000000079FC: 7EB60280
	s_mul_i32 s60, s88, s71                                    // 000000007A00: 923C4758
	v_add_u32_e64 v92, v46, s60                                // 000000007A04: D134005C 0000792E
	v_mov_b32_e32 v93, 0                                       // 000000007A0C: 7EBA0280
	s_mul_i32 s60, s89, s71                                    // 000000007A10: 923C4759
	v_add_u32_e64 v94, v46, s60                                // 000000007A14: D134005E 0000792E
	v_mov_b32_e32 v95, 0                                       // 000000007A1C: 7EBE0280
	buffer_load_dword v11, v5, s[16:19], 0 offen               // 000000007A20: E0501000 80040B05
	v_mov_b32_e32 v20, 0x358637bd                              // 000000007A28: 7E2802FF 358637BD
	v_mov_b32_e32 v21, 0x358637bd                              // 000000007A30: 7E2A02FF 358637BD
	v_max3_f32 v20, |v128|, |v129|, v20                        // 000000007A38: D1D30314 04530380
	v_max3_f32 v20, |v130|, |v131|, v20                        // 000000007A40: D1D30314 04530782
	v_max3_f32 v21, |v132|, |v133|, v21                        // 000000007A48: D1D30315 04570B84
	v_max3_f32 v21, |v134|, |v135|, v21                        // 000000007A50: D1D30315 04570F86
	v_max3_f32 v20, |v136|, |v137|, v20                        // 000000007A58: D1D30314 04531388
	v_max3_f32 v20, |v138|, |v139|, v20                        // 000000007A60: D1D30314 0453178A
	v_max3_f32 v21, |v140|, |v141|, v21                        // 000000007A68: D1D30315 04571B8C
	v_max3_f32 v21, |v142|, |v143|, v21                        // 000000007A70: D1D30315 04571F8E
	v_max3_f32 v20, |v144|, |v145|, v20                        // 000000007A78: D1D30314 04532390
	v_max3_f32 v20, |v146|, |v147|, v20                        // 000000007A80: D1D30314 04532792
	v_max3_f32 v21, |v148|, |v149|, v21                        // 000000007A88: D1D30315 04572B94
	v_max3_f32 v21, |v150|, |v151|, v21                        // 000000007A90: D1D30315 04572F96
	v_max3_f32 v20, |v152|, |v153|, v20                        // 000000007A98: D1D30314 04533398
	v_max3_f32 v20, |v154|, |v155|, v20                        // 000000007AA0: D1D30314 0453379A
	v_max3_f32 v21, |v156|, |v157|, v21                        // 000000007AA8: D1D30315 04573B9C
	v_max3_f32 v21, |v158|, |v159|, v21                        // 000000007AB0: D1D30315 04573F9E
	v_lshlrev_b32_e32 v46, 3, v0                               // 000000007AB8: 245C0083
	s_mul_i32 s60, 0x200, s7                                   // 000000007ABC: 923C07FF 00000200
	v_add_u32_e32 v46, s60, v46                                // 000000007AC4: 685C5C3C
	ds_write_b64 v46, v[20:21] offset:16640                    // 000000007AC8: D89A4100 0000142E
	s_waitcnt lgkmcnt(0)                                       // 000000007AD0: BF8CC07F
	s_barrier                                                  // 000000007AD4: BF8A0000
	v_and_b32_e32 v46, 15, v0                                  // 000000007AD8: 265C008F
	v_lshlrev_b32_e32 v46, 3, v46                              // 000000007ADC: 245C5C83
	ds_read_b64 v[96:97], v46 offset:16640                     // 000000007AE0: D8EC4100 6000002E
	ds_read_b64 v[98:99], v46 offset:16768                     // 000000007AE8: D8EC4180 6200002E
	ds_read_b64 v[100:101], v46 offset:16896                   // 000000007AF0: D8EC4200 6400002E
	ds_read_b64 v[102:103], v46 offset:17024                   // 000000007AF8: D8EC4280 6600002E
	ds_read_b64 v[104:105], v46 offset:17152                   // 000000007B00: D8EC4300 6800002E
	ds_read_b64 v[106:107], v46 offset:17280                   // 000000007B08: D8EC4380 6A00002E
	ds_read_b64 v[108:109], v46 offset:17408                   // 000000007B10: D8EC4400 6C00002E
	ds_read_b64 v[110:111], v46 offset:17536                   // 000000007B18: D8EC4480 6E00002E
	ds_read_b64 v[112:113], v46 offset:17664                   // 000000007B20: D8EC4500 7000002E
	ds_read_b64 v[114:115], v46 offset:17792                   // 000000007B28: D8EC4580 7200002E
	ds_read_b64 v[116:117], v46 offset:17920                   // 000000007B30: D8EC4600 7400002E
	ds_read_b64 v[118:119], v46 offset:18048                   // 000000007B38: D8EC4680 7600002E
	ds_read_b64 v[120:121], v46 offset:18176                   // 000000007B40: D8EC4700 7800002E
	ds_read_b64 v[122:123], v46 offset:18304                   // 000000007B48: D8EC4780 7A00002E
	ds_read_b64 v[124:125], v46 offset:18432                   // 000000007B50: D8EC4800 7C00002E
	ds_read_b64 v[126:127], v46 offset:18560                   // 000000007B58: D8EC4880 7E00002E
	s_waitcnt lgkmcnt(0)                                       // 000000007B60: BF8CC07F
	v_max3_f32 v20, |v96|, |v98|, v20                          // 000000007B64: D1D30314 0452C560
	v_max3_f32 v21, |v97|, |v99|, v21                          // 000000007B6C: D1D30315 0456C761
	v_max3_f32 v20, |v100|, |v102|, v20                        // 000000007B74: D1D30314 0452CD64
	v_max3_f32 v21, |v101|, |v103|, v21                        // 000000007B7C: D1D30315 0456CF65
	v_max3_f32 v20, |v104|, |v106|, v20                        // 000000007B84: D1D30314 0452D568
	v_max3_f32 v21, |v105|, |v107|, v21                        // 000000007B8C: D1D30315 0456D769
	v_max3_f32 v20, |v108|, |v110|, v20                        // 000000007B94: D1D30314 0452DD6C
	v_max3_f32 v21, |v109|, |v111|, v21                        // 000000007B9C: D1D30315 0456DF6D
	v_max3_f32 v20, |v112|, |v114|, v20                        // 000000007BA4: D1D30314 0452E570
	v_max3_f32 v21, |v113|, |v115|, v21                        // 000000007BAC: D1D30315 0456E771
	v_max3_f32 v20, |v116|, |v118|, v20                        // 000000007BB4: D1D30314 0452ED74
	v_max3_f32 v21, |v117|, |v119|, v21                        // 000000007BBC: D1D30315 0456EF75
	v_max3_f32 v20, |v120|, |v122|, v20                        // 000000007BC4: D1D30314 0452F578
	v_max3_f32 v21, |v121|, |v123|, v21                        // 000000007BCC: D1D30315 0456F779
	v_max3_f32 v20, |v124|, |v126|, v20                        // 000000007BD4: D1D30314 0452FD7C
	v_max3_f32 v21, |v125|, |v127|, v21                        // 000000007BDC: D1D30315 0456FF7D
	v_rcp_f32_e32 v20, v20                                     // 000000007BE4: 7E284514
	v_rcp_f32_e32 v21, v21                                     // 000000007BE8: 7E2A4515
	v_mov_b32_e32 v46, 0x43700000                              // 000000007BEC: 7E5C02FF 43700000
	v_mul_f32_e32 v20, v46, v20                                // 000000007BF4: 0A28292E
	v_mul_f32_e32 v21, v46, v21                                // 000000007BF8: 0A2A2B2E
	v_mul_f32_e32 v128, v20, v128                              // 000000007BFC: 0B010114
	v_mul_f32_e32 v129, v20, v129                              // 000000007C00: 0B030314
	v_mul_f32_e32 v130, v20, v130                              // 000000007C04: 0B050514
	v_mul_f32_e32 v131, v20, v131                              // 000000007C08: 0B070714
	v_cvt_pk_fp8_f32 v128, v128, v129                          // 000000007C0C: D2A20080 00030380
	v_cvt_pk_fp8_f32 v128, v130, v131 op_sel:[0,0,1]           // 000000007C14: D2A24080 00030782
	v_mul_f32_e32 v132, v21, v132                              // 000000007C1C: 0B090915
	v_mul_f32_e32 v133, v21, v133                              // 000000007C20: 0B0B0B15
	v_mul_f32_e32 v134, v21, v134                              // 000000007C24: 0B0D0D15
	v_mul_f32_e32 v135, v21, v135                              // 000000007C28: 0B0F0F15
	v_cvt_pk_fp8_f32 v129, v132, v133                          // 000000007C2C: D2A20081 00030B84
	v_cvt_pk_fp8_f32 v129, v134, v135 op_sel:[0,0,1]           // 000000007C34: D2A24081 00030F86
	v_mul_f32_e32 v136, v20, v136                              // 000000007C3C: 0B111114
	v_mul_f32_e32 v137, v20, v137                              // 000000007C40: 0B131314
	v_mul_f32_e32 v138, v20, v138                              // 000000007C44: 0B151514
	v_mul_f32_e32 v139, v20, v139                              // 000000007C48: 0B171714
	v_cvt_pk_fp8_f32 v130, v136, v137                          // 000000007C4C: D2A20082 00031388
	v_cvt_pk_fp8_f32 v130, v138, v139 op_sel:[0,0,1]           // 000000007C54: D2A24082 0003178A
	v_mul_f32_e32 v140, v21, v140                              // 000000007C5C: 0B191915
	v_mul_f32_e32 v141, v21, v141                              // 000000007C60: 0B1B1B15
	v_mul_f32_e32 v142, v21, v142                              // 000000007C64: 0B1D1D15
	v_mul_f32_e32 v143, v21, v143                              // 000000007C68: 0B1F1F15
	v_cvt_pk_fp8_f32 v131, v140, v141                          // 000000007C6C: D2A20083 00031B8C
	v_cvt_pk_fp8_f32 v131, v142, v143 op_sel:[0,0,1]           // 000000007C74: D2A24083 00031F8E
	v_mul_f32_e32 v144, v20, v144                              // 000000007C7C: 0B212114
	v_mul_f32_e32 v145, v20, v145                              // 000000007C80: 0B232314
	v_mul_f32_e32 v146, v20, v146                              // 000000007C84: 0B252514
	v_mul_f32_e32 v147, v20, v147                              // 000000007C88: 0B272714
	v_cvt_pk_fp8_f32 v132, v144, v145                          // 000000007C8C: D2A20084 00032390
	v_cvt_pk_fp8_f32 v132, v146, v147 op_sel:[0,0,1]           // 000000007C94: D2A24084 00032792
	v_mul_f32_e32 v148, v21, v148                              // 000000007C9C: 0B292915
	v_mul_f32_e32 v149, v21, v149                              // 000000007CA0: 0B2B2B15
	v_mul_f32_e32 v150, v21, v150                              // 000000007CA4: 0B2D2D15
	v_mul_f32_e32 v151, v21, v151                              // 000000007CA8: 0B2F2F15
	v_cvt_pk_fp8_f32 v133, v148, v149                          // 000000007CAC: D2A20085 00032B94
	v_cvt_pk_fp8_f32 v133, v150, v151 op_sel:[0,0,1]           // 000000007CB4: D2A24085 00032F96
	v_mul_f32_e32 v152, v20, v152                              // 000000007CBC: 0B313114
	v_mul_f32_e32 v153, v20, v153                              // 000000007CC0: 0B333314
	v_mul_f32_e32 v154, v20, v154                              // 000000007CC4: 0B353514
	v_mul_f32_e32 v155, v20, v155                              // 000000007CC8: 0B373714
	v_cvt_pk_fp8_f32 v134, v152, v153                          // 000000007CCC: D2A20086 00033398
	v_cvt_pk_fp8_f32 v134, v154, v155 op_sel:[0,0,1]           // 000000007CD4: D2A24086 0003379A
	v_mul_f32_e32 v156, v21, v156                              // 000000007CDC: 0B393915
	v_mul_f32_e32 v157, v21, v157                              // 000000007CE0: 0B3B3B15
	v_mul_f32_e32 v158, v21, v158                              // 000000007CE4: 0B3D3D15
	v_mul_f32_e32 v159, v21, v159                              // 000000007CE8: 0B3F3F15
	v_cvt_pk_fp8_f32 v135, v156, v157                          // 000000007CEC: D2A20087 00033B9C
	v_cvt_pk_fp8_f32 v135, v158, v159 op_sel:[0,0,1]           // 000000007CF4: D2A24087 00033F9E
	v_rcp_f32_e32 v22, v20                                     // 000000007CFC: 7E2C4514
	v_rcp_f32_e32 v23, v21                                     // 000000007D00: 7E2E4515
	v_lshrrev_b32_e32 v46, 5, v0                               // 000000007D04: 205C0085
	v_lshlrev_b32_e32 v47, 5, v46                              // 000000007D08: 245E5C85
	v_and_b32_e32 v46, 31, v0                                  // 000000007D0C: 265C009F
	v_lshrrev_b32_e32 v48, 4, v46                              // 000000007D10: 20605C84
	v_add_u32_e32 v47, v48, v47                                // 000000007D14: 685E5F30
	v_and_b32_e32 v46, 15, v0                                  // 000000007D18: 265C008F
	v_lshlrev_b32_e32 v46, 1, v46                              // 000000007D1C: 245C5C81
	v_add_u32_e32 v47, v46, v47                                // 000000007D20: 685E5F2E
	v_lshlrev_b32_e32 v46, 2, v47                              // 000000007D24: 245C5E82
	s_mul_i32 s60, 0x100, s7                                   // 000000007D28: 923C07FF 00000100
	v_add_u32_e64 v46, v46, s60                                // 000000007D30: D134002E 0000792E
	ds_write_b32 v46, v128 offset:18688                        // 000000007D38: D81A4900 0000802E
	ds_write_b32 v46, v129 offset:22784                        // 000000007D40: D81A5900 0000812E
	ds_write_b32 v46, v130 offset:19712                        // 000000007D48: D81A4D00 0000822E
	ds_write_b32 v46, v131 offset:23808                        // 000000007D50: D81A5D00 0000832E
	ds_write_b32 v46, v132 offset:20736                        // 000000007D58: D81A5100 0000842E
	ds_write_b32 v46, v133 offset:24832                        // 000000007D60: D81A6100 0000852E
	ds_write_b32 v46, v134 offset:21760                        // 000000007D68: D81A5500 0000862E
	ds_write_b32 v46, v135 offset:25856                        // 000000007D70: D81A6500 0000872E
	s_waitcnt lgkmcnt(0)                                       // 000000007D78: BF8CC07F
	s_barrier                                                  // 000000007D7C: BF8A0000
	v_lshrrev_b32_e32 v46, 4, v0                               // 000000007D80: 205C0084
	v_lshlrev_b32_e32 v47, 6, v46                              // 000000007D84: 245E5C86
	v_and_b32_e32 v46, 15, v0                                  // 000000007D88: 265C008F
	v_lshlrev_b32_e32 v46, 1, v46                              // 000000007D8C: 245C5C81
	v_add_u32_e32 v47, v46, v47                                // 000000007D90: 685E5F2E
	v_lshlrev_b32_e32 v46, 2, v47                              // 000000007D94: 245C5E82
	ds_read_b64 v[128:129], v46 offset:18688                   // 000000007D98: D8EC4900 8000002E
	ds_read_b64 v[130:131], v46 offset:18816                   // 000000007DA0: D8EC4980 8200002E
	ds_read_b64 v[132:133], v46 offset:19712                   // 000000007DA8: D8EC4D00 8400002E
	ds_read_b64 v[134:135], v46 offset:19840                   // 000000007DB0: D8EC4D80 8600002E
	ds_read_b64 v[136:137], v46 offset:20736                   // 000000007DB8: D8EC5100 8800002E
	ds_read_b64 v[138:139], v46 offset:20864                   // 000000007DC0: D8EC5180 8A00002E
	ds_read_b64 v[140:141], v46 offset:21760                   // 000000007DC8: D8EC5500 8C00002E
	ds_read_b64 v[142:143], v46 offset:21888                   // 000000007DD0: D8EC5580 8E00002E
	ds_read_b64 v[144:145], v46 offset:22784                   // 000000007DD8: D8EC5900 9000002E
	ds_read_b64 v[146:147], v46 offset:22912                   // 000000007DE0: D8EC5980 9200002E
	ds_read_b64 v[148:149], v46 offset:23808                   // 000000007DE8: D8EC5D00 9400002E
	ds_read_b64 v[150:151], v46 offset:23936                   // 000000007DF0: D8EC5D80 9600002E
	ds_read_b64 v[152:153], v46 offset:24832                   // 000000007DF8: D8EC6100 9800002E
	ds_read_b64 v[154:155], v46 offset:24960                   // 000000007E00: D8EC6180 9A00002E
	ds_read_b64 v[156:157], v46 offset:25856                   // 000000007E08: D8EC6500 9C00002E
	ds_read_b64 v[158:159], v46 offset:25984                   // 000000007E10: D8EC6580 9E00002E
	s_add_u32 s12, s56, s12                                    // 000000007E18: 800C0C38
	s_addc_u32 s13, 0, s13                                     // 000000007E1C: 820D0D80
	s_add_u32 s16, s79, s16                                    // 000000007E20: 8010104F
	s_addc_u32 s17, 0, s17                                     // 000000007E24: 82111180
	s_mov_b32 s80, 0                                           // 000000007E28: BED00080
	s_waitcnt vmcnt(0) expcnt(0) lgkmcnt(0)                    // 000000007E2C: BF8C0000

0000000000007e30 <label_14CC>:
	s_waitcnt vmcnt(29)                                        // 000000007E30: BF8C4F7D
	s_barrier                                                  // 000000007E34: BF8A0000
	v_mfma_f32_16x16x32_fp8_fp8 v[160:163], a[0:1], v[128:129], 0// 000000007E38: D3F300A0 0A030100
	buffer_load_dwordx4 a[64:67], v36, s[12:15], 0 offen       // 000000007E40: E05C1000 80834024
	v_mfma_f32_16x16x32_fp8_fp8 v[160:163], a[2:3], v[130:131], v[160:163]// 000000007E48: D3F300A0 0E830502
	v_mfma_f32_16x16x32_fp8_fp8 v[164:167], a[0:1], v[144:145], 0// 000000007E50: D3F300A4 0A032100
	v_mfma_f32_16x16x32_fp8_fp8 v[164:167], a[2:3], v[146:147], v[164:167]// 000000007E58: D3F300A4 0E932502
	v_mfma_f32_16x16x32_fp8_fp8 v[168:171], a[4:5], v[128:129], 0// 000000007E60: D3F300A8 0A030104
	buffer_load_dwordx4 a[68:71], v37, s[12:15], 0 offen       // 000000007E68: E05C1000 80834425
	v_mfma_f32_16x16x32_fp8_fp8 v[168:171], a[6:7], v[130:131], v[168:171]// 000000007E70: D3F300A8 0EA30506
	v_mfma_f32_16x16x32_fp8_fp8 v[172:175], a[4:5], v[144:145], 0// 000000007E78: D3F300AC 0A032104
	v_mfma_f32_16x16x32_fp8_fp8 v[172:175], a[6:7], v[146:147], v[172:175]// 000000007E80: D3F300AC 0EB32506
	v_mfma_f32_16x16x32_fp8_fp8 v[176:179], a[8:9], v[128:129], 0// 000000007E88: D3F300B0 0A030108
	buffer_load_dwordx4 a[72:75], v38, s[12:15], 0 offen       // 000000007E90: E05C1000 80834826
	v_mfma_f32_16x16x32_fp8_fp8 v[176:179], a[10:11], v[130:131], v[176:179]// 000000007E98: D3F300B0 0EC3050A
	v_mfma_f32_16x16x32_fp8_fp8 v[180:183], a[8:9], v[144:145], 0// 000000007EA0: D3F300B4 0A032108
	v_mfma_f32_16x16x32_fp8_fp8 v[180:183], a[10:11], v[146:147], v[180:183]// 000000007EA8: D3F300B4 0ED3250A
	v_mfma_f32_16x16x32_fp8_fp8 v[184:187], a[12:13], v[128:129], 0// 000000007EB0: D3F300B8 0A03010C
	buffer_load_dwordx4 a[76:79], v39, s[12:15], 0 offen       // 000000007EB8: E05C1000 80834C27
	s_add_u32 s12, s78, s12                                    // 000000007EC0: 800C0C4E
	s_addc_u32 s13, 0, s13                                     // 000000007EC4: 820D0D80
	v_mfma_f32_16x16x32_fp8_fp8 v[184:187], a[14:15], v[130:131], v[184:187]// 000000007EC8: D3F300B8 0EE3050E
	v_mfma_f32_16x16x32_fp8_fp8 v[188:191], a[12:13], v[144:145], 0// 000000007ED0: D3F300BC 0A03210C
	v_mfma_f32_16x16x32_fp8_fp8 v[188:191], a[14:15], v[146:147], v[188:191]// 000000007ED8: D3F300BC 0EF3250E
	s_waitcnt vmcnt(29)                                        // 000000007EE0: BF8C4F7D
	v_mfma_f32_16x16x32_fp8_fp8 v[160:163], a[16:17], v[132:133], v[160:163]// 000000007EE4: D3F300A0 0E830910
	buffer_load_dwordx4 a[80:83], v36, s[12:15], 0 offen       // 000000007EEC: E05C1000 80835024
	v_mfma_f32_16x16x32_fp8_fp8 v[160:163], a[18:19], v[134:135], v[160:163]// 000000007EF4: D3F300A0 0E830D12
	v_mfma_f32_16x16x32_fp8_fp8 v[164:167], a[16:17], v[148:149], v[164:167]// 000000007EFC: D3F300A4 0E932910
	v_mfma_f32_16x16x32_fp8_fp8 v[164:167], a[18:19], v[150:151], v[164:167]// 000000007F04: D3F300A4 0E932D12
	v_mfma_f32_16x16x32_fp8_fp8 v[168:171], a[20:21], v[132:133], v[168:171]// 000000007F0C: D3F300A8 0EA30914
	buffer_load_dwordx4 a[84:87], v37, s[12:15], 0 offen       // 000000007F14: E05C1000 80835425
	v_mfma_f32_16x16x32_fp8_fp8 v[168:171], a[22:23], v[134:135], v[168:171]// 000000007F1C: D3F300A8 0EA30D16
	v_mfma_f32_16x16x32_fp8_fp8 v[172:175], a[20:21], v[148:149], v[172:175]// 000000007F24: D3F300AC 0EB32914
	v_mfma_f32_16x16x32_fp8_fp8 v[172:175], a[22:23], v[150:151], v[172:175]// 000000007F2C: D3F300AC 0EB32D16
	v_mfma_f32_16x16x32_fp8_fp8 v[176:179], a[24:25], v[132:133], v[176:179]// 000000007F34: D3F300B0 0EC30918
	buffer_load_dwordx4 a[88:91], v38, s[12:15], 0 offen       // 000000007F3C: E05C1000 80835826
	v_mfma_f32_16x16x32_fp8_fp8 v[176:179], a[26:27], v[134:135], v[176:179]// 000000007F44: D3F300B0 0EC30D1A
	v_mfma_f32_16x16x32_fp8_fp8 v[180:183], a[24:25], v[148:149], v[180:183]// 000000007F4C: D3F300B4 0ED32918
	v_mfma_f32_16x16x32_fp8_fp8 v[180:183], a[26:27], v[150:151], v[180:183]// 000000007F54: D3F300B4 0ED32D1A
	v_mfma_f32_16x16x32_fp8_fp8 v[184:187], a[28:29], v[132:133], v[184:187]// 000000007F5C: D3F300B8 0EE3091C
	buffer_load_dwordx4 a[92:95], v39, s[12:15], 0 offen       // 000000007F64: E05C1000 80835C27
	s_add_u32 s12, s78, s12                                    // 000000007F6C: 800C0C4E
	s_addc_u32 s13, 0, s13                                     // 000000007F70: 820D0D80
	v_mfma_f32_16x16x32_fp8_fp8 v[184:187], a[30:31], v[134:135], v[184:187]// 000000007F74: D3F300B8 0EE30D1E
	v_mfma_f32_16x16x32_fp8_fp8 v[188:191], a[28:29], v[148:149], v[188:191]// 000000007F7C: D3F300BC 0EF3291C
	v_mfma_f32_16x16x32_fp8_fp8 v[188:191], a[30:31], v[150:151], v[188:191]// 000000007F84: D3F300BC 0EF32D1E
	s_waitcnt vmcnt(29)                                        // 000000007F8C: BF8C4F7D
	v_mfma_f32_16x16x32_fp8_fp8 v[160:163], a[32:33], v[136:137], v[160:163]// 000000007F90: D3F300A0 0E831120
	buffer_load_dwordx4 a[96:99], v36, s[12:15], 0 offen       // 000000007F98: E05C1000 80836024
	v_mfma_f32_16x16x32_fp8_fp8 v[160:163], a[34:35], v[138:139], v[160:163]// 000000007FA0: D3F300A0 0E831522
	v_mfma_f32_16x16x32_fp8_fp8 v[164:167], a[32:33], v[152:153], v[164:167]// 000000007FA8: D3F300A4 0E933120
	v_mfma_f32_16x16x32_fp8_fp8 v[164:167], a[34:35], v[154:155], v[164:167]// 000000007FB0: D3F300A4 0E933522
	v_mfma_f32_16x16x32_fp8_fp8 v[168:171], a[36:37], v[136:137], v[168:171]// 000000007FB8: D3F300A8 0EA31124
	buffer_load_dwordx4 a[100:103], v37, s[12:15], 0 offen     // 000000007FC0: E05C1000 80836425
	v_mfma_f32_16x16x32_fp8_fp8 v[168:171], a[38:39], v[138:139], v[168:171]// 000000007FC8: D3F300A8 0EA31526
	v_mfma_f32_16x16x32_fp8_fp8 v[172:175], a[36:37], v[152:153], v[172:175]// 000000007FD0: D3F300AC 0EB33124
	v_mfma_f32_16x16x32_fp8_fp8 v[172:175], a[38:39], v[154:155], v[172:175]// 000000007FD8: D3F300AC 0EB33526
	v_mfma_f32_16x16x32_fp8_fp8 v[176:179], a[40:41], v[136:137], v[176:179]// 000000007FE0: D3F300B0 0EC31128
	buffer_load_dwordx4 a[104:107], v38, s[12:15], 0 offen     // 000000007FE8: E05C1000 80836826
	v_mfma_f32_16x16x32_fp8_fp8 v[176:179], a[42:43], v[138:139], v[176:179]// 000000007FF0: D3F300B0 0EC3152A
	v_mfma_f32_16x16x32_fp8_fp8 v[180:183], a[40:41], v[152:153], v[180:183]// 000000007FF8: D3F300B4 0ED33128
	v_mfma_f32_16x16x32_fp8_fp8 v[180:183], a[42:43], v[154:155], v[180:183]// 000000008000: D3F300B4 0ED3352A
	v_mfma_f32_16x16x32_fp8_fp8 v[184:187], a[44:45], v[136:137], v[184:187]// 000000008008: D3F300B8 0EE3112C
	buffer_load_dwordx4 a[108:111], v39, s[12:15], 0 offen     // 000000008010: E05C1000 80836C27
	s_add_u32 s12, s78, s12                                    // 000000008018: 800C0C4E
	s_addc_u32 s13, 0, s13                                     // 00000000801C: 820D0D80
	v_mfma_f32_16x16x32_fp8_fp8 v[184:187], a[46:47], v[138:139], v[184:187]// 000000008020: D3F300B8 0EE3152E
	v_mfma_f32_16x16x32_fp8_fp8 v[188:191], a[44:45], v[152:153], v[188:191]// 000000008028: D3F300BC 0EF3312C
	v_mfma_f32_16x16x32_fp8_fp8 v[188:191], a[46:47], v[154:155], v[188:191]// 000000008030: D3F300BC 0EF3352E
	s_waitcnt vmcnt(28)                                        // 000000008038: BF8C4F7C
	v_mfma_f32_16x16x32_fp8_fp8 v[160:163], a[48:49], v[140:141], v[160:163]// 00000000803C: D3F300A0 0E831930
	buffer_load_dwordx4 a[112:115], v36, s[12:15], 0 offen     // 000000008044: E05C1000 80837024
	v_mfma_f32_16x16x32_fp8_fp8 v[160:163], a[50:51], v[142:143], v[160:163]// 00000000804C: D3F300A0 0E831D32
	v_mfma_f32_16x16x32_fp8_fp8 v[164:167], a[48:49], v[156:157], v[164:167]// 000000008054: D3F300A4 0E933930
	buffer_load_dword v12, v5, s[16:19], 0 offen               // 00000000805C: E0501000 80040C05
	v_mfma_f32_16x16x32_fp8_fp8 v[164:167], a[50:51], v[158:159], v[164:167]// 000000008064: D3F300A4 0E933D32
	v_mfma_f32_16x16x32_fp8_fp8 v[168:171], a[52:53], v[140:141], v[168:171]// 00000000806C: D3F300A8 0EA31934
	buffer_load_dwordx4 a[116:119], v37, s[12:15], 0 offen     // 000000008074: E05C1000 80837425
	v_mfma_f32_16x16x32_fp8_fp8 v[168:171], a[54:55], v[142:143], v[168:171]// 00000000807C: D3F300A8 0EA31D36
	v_mfma_f32_16x16x32_fp8_fp8 v[172:175], a[52:53], v[156:157], v[172:175]// 000000008084: D3F300AC 0EB33934
	v_mfma_f32_16x16x32_fp8_fp8 v[172:175], a[54:55], v[158:159], v[172:175]// 00000000808C: D3F300AC 0EB33D36
	v_mfma_f32_16x16x32_fp8_fp8 v[176:179], a[56:57], v[140:141], v[176:179]// 000000008094: D3F300B0 0EC31938
	buffer_load_dwordx4 a[120:123], v38, s[12:15], 0 offen     // 00000000809C: E05C1000 80837826
	v_mfma_f32_16x16x32_fp8_fp8 v[176:179], a[58:59], v[142:143], v[176:179]// 0000000080A4: D3F300B0 0EC31D3A
	v_mfma_f32_16x16x32_fp8_fp8 v[180:183], a[56:57], v[156:157], v[180:183]// 0000000080AC: D3F300B4 0ED33938
	v_mfma_f32_16x16x32_fp8_fp8 v[180:183], a[58:59], v[158:159], v[180:183]// 0000000080B4: D3F300B4 0ED33D3A
	v_mfma_f32_16x16x32_fp8_fp8 v[184:187], a[60:61], v[140:141], v[184:187]// 0000000080BC: D3F300B8 0EE3193C
	buffer_load_dwordx4 a[124:127], v39, s[12:15], 0 offen     // 0000000080C4: E05C1000 80837C27
	v_mfma_f32_16x16x32_fp8_fp8 v[184:187], a[62:63], v[142:143], v[184:187]// 0000000080CC: D3F300B8 0EE31D3E
	v_mfma_f32_16x16x32_fp8_fp8 v[188:191], a[60:61], v[156:157], v[188:191]// 0000000080D4: D3F300BC 0EF3393C
	v_mfma_f32_16x16x32_fp8_fp8 v[188:191], a[62:63], v[158:159], v[188:191]// 0000000080DC: D3F300BC 0EF33D3E
	s_add_u32 s60, 0x200, s80                                  // 0000000080E4: 803C50FF 00000200
	s_cmp_lt_u32 s60, s81                                      // 0000000080EC: BF0A513C
	s_cselect_b32 s56, s56, 0                                  // 0000000080F0: 85388038
	s_cselect_b32 s78, s78, 0                                  // 0000000080F4: 854E804E
	s_cselect_b32 s79, s79, 0                                  // 0000000080F8: 854F804F
	s_add_u32 s12, s56, s12                                    // 0000000080FC: 800C0C38
	s_addc_u32 s13, 0, s13                                     // 000000008100: 820D0D80
	s_add_u32 s16, s79, s16                                    // 000000008104: 8010104F
	s_addc_u32 s17, 0, s17                                     // 000000008108: 82111180
	v_mul_f32_e32 v160, v22, v160                              // 00000000810C: 0B414116
	v_mul_f32_e32 v161, v22, v161                              // 000000008110: 0B434316
	v_mul_f32_e32 v162, v22, v162                              // 000000008114: 0B454516
	v_mul_f32_e32 v163, v22, v163                              // 000000008118: 0B474716
	v_mul_f32_dpp v160, v11, v160 row_newbcast:0 row_mask:0xf bank_mask:0xf// 00000000811C: 0B4140FA FF01500B
	v_mul_f32_dpp v161, v11, v161 row_newbcast:1 row_mask:0xf bank_mask:0xf// 000000008124: 0B4342FA FF01510B
	v_mul_f32_dpp v162, v11, v162 row_newbcast:2 row_mask:0xf bank_mask:0xf// 00000000812C: 0B4544FA FF01520B
	v_mul_f32_dpp v163, v11, v163 row_newbcast:3 row_mask:0xf bank_mask:0xf// 000000008134: 0B4746FA FF01530B
	v_mul_f32_e32 v160, v17, v160                              // 00000000813C: 0B414111
	v_mul_f32_e32 v161, v17, v161                              // 000000008140: 0B434311
	v_mul_f32_e32 v162, v17, v162                              // 000000008144: 0B454511
	v_mul_f32_e32 v163, v17, v163                              // 000000008148: 0B474711
	v_mul_f32_e32 v164, v23, v164                              // 00000000814C: 0B494917
	v_mul_f32_e32 v165, v23, v165                              // 000000008150: 0B4B4B17
	v_mul_f32_e32 v166, v23, v166                              // 000000008154: 0B4D4D17
	v_mul_f32_e32 v167, v23, v167                              // 000000008158: 0B4F4F17
	v_mul_f32_dpp v164, v11, v164 row_newbcast:0 row_mask:0xf bank_mask:0xf// 00000000815C: 0B4948FA FF01500B
	v_mul_f32_dpp v165, v11, v165 row_newbcast:1 row_mask:0xf bank_mask:0xf// 000000008164: 0B4B4AFA FF01510B
	v_mul_f32_dpp v166, v11, v166 row_newbcast:2 row_mask:0xf bank_mask:0xf// 00000000816C: 0B4D4CFA FF01520B
	v_mul_f32_dpp v167, v11, v167 row_newbcast:3 row_mask:0xf bank_mask:0xf// 000000008174: 0B4F4EFA FF01530B
	v_mul_f32_e32 v164, v18, v164                              // 00000000817C: 0B494912
	v_mul_f32_e32 v165, v18, v165                              // 000000008180: 0B4B4B12
	v_mul_f32_e32 v166, v18, v166                              // 000000008184: 0B4D4D12
	v_mul_f32_e32 v167, v18, v167                              // 000000008188: 0B4F4F12
	v_mul_f32_e32 v168, v22, v168                              // 00000000818C: 0B515116
	v_mul_f32_e32 v169, v22, v169                              // 000000008190: 0B535316
	v_mul_f32_e32 v170, v22, v170                              // 000000008194: 0B555516
	v_mul_f32_e32 v171, v22, v171                              // 000000008198: 0B575716
	v_mul_f32_dpp v168, v11, v168 row_newbcast:4 row_mask:0xf bank_mask:0xf// 00000000819C: 0B5150FA FF01540B
	v_mul_f32_dpp v169, v11, v169 row_newbcast:5 row_mask:0xf bank_mask:0xf// 0000000081A4: 0B5352FA FF01550B
	v_mul_f32_dpp v170, v11, v170 row_newbcast:6 row_mask:0xf bank_mask:0xf// 0000000081AC: 0B5554FA FF01560B
	v_mul_f32_dpp v171, v11, v171 row_newbcast:7 row_mask:0xf bank_mask:0xf// 0000000081B4: 0B5756FA FF01570B
	v_mul_f32_e32 v168, v17, v168                              // 0000000081BC: 0B515111
	v_mul_f32_e32 v169, v17, v169                              // 0000000081C0: 0B535311
	v_mul_f32_e32 v170, v17, v170                              // 0000000081C4: 0B555511
	v_mul_f32_e32 v171, v17, v171                              // 0000000081C8: 0B575711
	v_mul_f32_e32 v172, v23, v172                              // 0000000081CC: 0B595917
	v_mul_f32_e32 v173, v23, v173                              // 0000000081D0: 0B5B5B17
	v_mul_f32_e32 v174, v23, v174                              // 0000000081D4: 0B5D5D17
	v_mul_f32_e32 v175, v23, v175                              // 0000000081D8: 0B5F5F17
	v_mul_f32_dpp v172, v11, v172 row_newbcast:4 row_mask:0xf bank_mask:0xf// 0000000081DC: 0B5958FA FF01540B
	v_mul_f32_dpp v173, v11, v173 row_newbcast:5 row_mask:0xf bank_mask:0xf// 0000000081E4: 0B5B5AFA FF01550B
	v_mul_f32_dpp v174, v11, v174 row_newbcast:6 row_mask:0xf bank_mask:0xf// 0000000081EC: 0B5D5CFA FF01560B
	v_mul_f32_dpp v175, v11, v175 row_newbcast:7 row_mask:0xf bank_mask:0xf// 0000000081F4: 0B5F5EFA FF01570B
	v_mul_f32_e32 v172, v18, v172                              // 0000000081FC: 0B595912
	v_mul_f32_e32 v173, v18, v173                              // 000000008200: 0B5B5B12
	v_mul_f32_e32 v174, v18, v174                              // 000000008204: 0B5D5D12
	v_mul_f32_e32 v175, v18, v175                              // 000000008208: 0B5F5F12
	v_mul_f32_e32 v176, v22, v176                              // 00000000820C: 0B616116
	v_mul_f32_e32 v177, v22, v177                              // 000000008210: 0B636316
	v_mul_f32_e32 v178, v22, v178                              // 000000008214: 0B656516
	v_mul_f32_e32 v179, v22, v179                              // 000000008218: 0B676716
	v_mul_f32_dpp v176, v11, v176 row_newbcast:8 row_mask:0xf bank_mask:0xf// 00000000821C: 0B6160FA FF01580B
	v_mul_f32_dpp v177, v11, v177 row_newbcast:9 row_mask:0xf bank_mask:0xf// 000000008224: 0B6362FA FF01590B
	v_mul_f32_dpp v178, v11, v178 row_newbcast:10 row_mask:0xf bank_mask:0xf// 00000000822C: 0B6564FA FF015A0B
	v_mul_f32_dpp v179, v11, v179 row_newbcast:11 row_mask:0xf bank_mask:0xf// 000000008234: 0B6766FA FF015B0B
	v_mul_f32_e32 v176, v17, v176                              // 00000000823C: 0B616111
	v_mul_f32_e32 v177, v17, v177                              // 000000008240: 0B636311
	v_mul_f32_e32 v178, v17, v178                              // 000000008244: 0B656511
	v_mul_f32_e32 v179, v17, v179                              // 000000008248: 0B676711
	v_mul_f32_e32 v180, v23, v180                              // 00000000824C: 0B696917
	v_mul_f32_e32 v181, v23, v181                              // 000000008250: 0B6B6B17
	v_mul_f32_e32 v182, v23, v182                              // 000000008254: 0B6D6D17
	v_mul_f32_e32 v183, v23, v183                              // 000000008258: 0B6F6F17
	v_mul_f32_dpp v180, v11, v180 row_newbcast:8 row_mask:0xf bank_mask:0xf// 00000000825C: 0B6968FA FF01580B
	v_mul_f32_dpp v181, v11, v181 row_newbcast:9 row_mask:0xf bank_mask:0xf// 000000008264: 0B6B6AFA FF01590B
	v_mul_f32_dpp v182, v11, v182 row_newbcast:10 row_mask:0xf bank_mask:0xf// 00000000826C: 0B6D6CFA FF015A0B
	v_mul_f32_dpp v183, v11, v183 row_newbcast:11 row_mask:0xf bank_mask:0xf// 000000008274: 0B6F6EFA FF015B0B
	v_mul_f32_e32 v180, v18, v180                              // 00000000827C: 0B696912
	v_mul_f32_e32 v181, v18, v181                              // 000000008280: 0B6B6B12
	v_mul_f32_e32 v182, v18, v182                              // 000000008284: 0B6D6D12
	v_mul_f32_e32 v183, v18, v183                              // 000000008288: 0B6F6F12
	v_mul_f32_e32 v184, v22, v184                              // 00000000828C: 0B717116
	v_mul_f32_e32 v185, v22, v185                              // 000000008290: 0B737316
	v_mul_f32_e32 v186, v22, v186                              // 000000008294: 0B757516
	v_mul_f32_e32 v187, v22, v187                              // 000000008298: 0B777716
	v_mul_f32_dpp v184, v11, v184 row_newbcast:12 row_mask:0xf bank_mask:0xf// 00000000829C: 0B7170FA FF015C0B
	v_mul_f32_dpp v185, v11, v185 row_newbcast:13 row_mask:0xf bank_mask:0xf// 0000000082A4: 0B7372FA FF015D0B
	v_mul_f32_dpp v186, v11, v186 row_newbcast:14 row_mask:0xf bank_mask:0xf// 0000000082AC: 0B7574FA FF015E0B
	v_mul_f32_dpp v187, v11, v187 row_newbcast:15 row_mask:0xf bank_mask:0xf// 0000000082B4: 0B7776FA FF015F0B
	v_mul_f32_e32 v184, v17, v184                              // 0000000082BC: 0B717111
	v_mul_f32_e32 v185, v17, v185                              // 0000000082C0: 0B737311
	v_mul_f32_e32 v186, v17, v186                              // 0000000082C4: 0B757511
	v_mul_f32_e32 v187, v17, v187                              // 0000000082C8: 0B777711
	v_mul_f32_e32 v188, v23, v188                              // 0000000082CC: 0B797917
	v_mul_f32_e32 v189, v23, v189                              // 0000000082D0: 0B7B7B17
	v_mul_f32_e32 v190, v23, v190                              // 0000000082D4: 0B7D7D17
	v_mul_f32_e32 v191, v23, v191                              // 0000000082D8: 0B7F7F17
	v_mul_f32_dpp v188, v11, v188 row_newbcast:12 row_mask:0xf bank_mask:0xf// 0000000082DC: 0B7978FA FF015C0B
	v_mul_f32_dpp v189, v11, v189 row_newbcast:13 row_mask:0xf bank_mask:0xf// 0000000082E4: 0B7B7AFA FF015D0B
	v_mul_f32_dpp v190, v11, v190 row_newbcast:14 row_mask:0xf bank_mask:0xf// 0000000082EC: 0B7D7CFA FF015E0B
	v_mul_f32_dpp v191, v11, v191 row_newbcast:15 row_mask:0xf bank_mask:0xf// 0000000082F4: 0B7F7EFA FF015F0B
	v_mul_f32_e32 v188, v18, v188                              // 0000000082FC: 0B797912
	v_mul_f32_e32 v189, v18, v189                              // 000000008300: 0B7B7B12
	v_mul_f32_e32 v190, v18, v190                              // 000000008304: 0B7D7D12
	v_mul_f32_e32 v191, v18, v191                              // 000000008308: 0B7F7F12
	v_cmp_u_f32_e64 s[48:49], v160, v160                       // 00000000830C: D0480030 000341A0
	v_add3_u32 v40, v160, v43, 1                               // 000000008314: D1FF0028 020657A0
	v_cndmask_b32_e64 v46, v40, v42, s[48:49]                  // 00000000831C: D100002E 00C25528
	v_cmp_u_f32_e64 s[48:49], v161, v161                       // 000000008324: D0480030 000343A1
	v_add3_u32 v40, v161, v43, 1                               // 00000000832C: D1FF0028 020657A1
	v_cndmask_b32_e64 v47, v40, v42, s[48:49]                  // 000000008334: D100002F 00C25528
	v_perm_b32 v160, v47, v46, s52                             // 00000000833C: D1ED00A0 00D25D2F
	v_cmp_u_f32_e64 s[48:49], v162, v162                       // 000000008344: D0480030 000345A2
	v_add3_u32 v40, v162, v43, 1                               // 00000000834C: D1FF0028 020657A2
	v_cndmask_b32_e64 v46, v40, v42, s[48:49]                  // 000000008354: D100002E 00C25528
	v_cmp_u_f32_e64 s[48:49], v163, v163                       // 00000000835C: D0480030 000347A3
	v_add3_u32 v40, v163, v43, 1                               // 000000008364: D1FF0028 020657A3
	v_cndmask_b32_e64 v47, v40, v42, s[48:49]                  // 00000000836C: D100002F 00C25528
	v_perm_b32 v161, v47, v46, s52                             // 000000008374: D1ED00A1 00D25D2F
	v_cmp_u_f32_e64 s[48:49], v164, v164                       // 00000000837C: D0480030 000349A4
	v_add3_u32 v40, v164, v43, 1                               // 000000008384: D1FF0028 020657A4
	v_cndmask_b32_e64 v46, v40, v42, s[48:49]                  // 00000000838C: D100002E 00C25528
	v_cmp_u_f32_e64 s[48:49], v165, v165                       // 000000008394: D0480030 00034BA5
	v_add3_u32 v40, v165, v43, 1                               // 00000000839C: D1FF0028 020657A5
	v_cndmask_b32_e64 v47, v40, v42, s[48:49]                  // 0000000083A4: D100002F 00C25528
	v_perm_b32 v162, v47, v46, s52                             // 0000000083AC: D1ED00A2 00D25D2F
	v_cmp_u_f32_e64 s[48:49], v166, v166                       // 0000000083B4: D0480030 00034DA6
	v_add3_u32 v40, v166, v43, 1                               // 0000000083BC: D1FF0028 020657A6
	v_cndmask_b32_e64 v46, v40, v42, s[48:49]                  // 0000000083C4: D100002E 00C25528
	v_cmp_u_f32_e64 s[48:49], v167, v167                       // 0000000083CC: D0480030 00034FA7
	v_add3_u32 v40, v167, v43, 1                               // 0000000083D4: D1FF0028 020657A7
	v_cndmask_b32_e64 v47, v40, v42, s[48:49]                  // 0000000083DC: D100002F 00C25528
	v_perm_b32 v163, v47, v46, s52                             // 0000000083E4: D1ED00A3 00D25D2F
	v_cmp_u_f32_e64 s[48:49], v168, v168                       // 0000000083EC: D0480030 000351A8
	v_add3_u32 v40, v168, v43, 1                               // 0000000083F4: D1FF0028 020657A8
	v_cndmask_b32_e64 v46, v40, v42, s[48:49]                  // 0000000083FC: D100002E 00C25528
	v_cmp_u_f32_e64 s[48:49], v169, v169                       // 000000008404: D0480030 000353A9
	v_add3_u32 v40, v169, v43, 1                               // 00000000840C: D1FF0028 020657A9
	v_cndmask_b32_e64 v47, v40, v42, s[48:49]                  // 000000008414: D100002F 00C25528
	v_perm_b32 v164, v47, v46, s52                             // 00000000841C: D1ED00A4 00D25D2F
	v_cmp_u_f32_e64 s[48:49], v170, v170                       // 000000008424: D0480030 000355AA
	v_add3_u32 v40, v170, v43, 1                               // 00000000842C: D1FF0028 020657AA
	v_cndmask_b32_e64 v46, v40, v42, s[48:49]                  // 000000008434: D100002E 00C25528
	v_cmp_u_f32_e64 s[48:49], v171, v171                       // 00000000843C: D0480030 000357AB
	v_add3_u32 v40, v171, v43, 1                               // 000000008444: D1FF0028 020657AB
	v_cndmask_b32_e64 v47, v40, v42, s[48:49]                  // 00000000844C: D100002F 00C25528
	v_perm_b32 v165, v47, v46, s52                             // 000000008454: D1ED00A5 00D25D2F
	v_cmp_u_f32_e64 s[48:49], v172, v172                       // 00000000845C: D0480030 000359AC
	v_add3_u32 v40, v172, v43, 1                               // 000000008464: D1FF0028 020657AC
	v_cndmask_b32_e64 v46, v40, v42, s[48:49]                  // 00000000846C: D100002E 00C25528
	v_cmp_u_f32_e64 s[48:49], v173, v173                       // 000000008474: D0480030 00035BAD
	v_add3_u32 v40, v173, v43, 1                               // 00000000847C: D1FF0028 020657AD
	v_cndmask_b32_e64 v47, v40, v42, s[48:49]                  // 000000008484: D100002F 00C25528
	v_perm_b32 v166, v47, v46, s52                             // 00000000848C: D1ED00A6 00D25D2F
	v_cmp_u_f32_e64 s[48:49], v174, v174                       // 000000008494: D0480030 00035DAE
	v_add3_u32 v40, v174, v43, 1                               // 00000000849C: D1FF0028 020657AE
	v_cndmask_b32_e64 v46, v40, v42, s[48:49]                  // 0000000084A4: D100002E 00C25528
	v_cmp_u_f32_e64 s[48:49], v175, v175                       // 0000000084AC: D0480030 00035FAF
	v_add3_u32 v40, v175, v43, 1                               // 0000000084B4: D1FF0028 020657AF
	v_cndmask_b32_e64 v47, v40, v42, s[48:49]                  // 0000000084BC: D100002F 00C25528
	v_perm_b32 v167, v47, v46, s52                             // 0000000084C4: D1ED00A7 00D25D2F
	v_cmp_u_f32_e64 s[48:49], v176, v176                       // 0000000084CC: D0480030 000361B0
	v_add3_u32 v40, v176, v43, 1                               // 0000000084D4: D1FF0028 020657B0
	v_cndmask_b32_e64 v46, v40, v42, s[48:49]                  // 0000000084DC: D100002E 00C25528
	v_cmp_u_f32_e64 s[48:49], v177, v177                       // 0000000084E4: D0480030 000363B1
	v_add3_u32 v40, v177, v43, 1                               // 0000000084EC: D1FF0028 020657B1
	v_cndmask_b32_e64 v47, v40, v42, s[48:49]                  // 0000000084F4: D100002F 00C25528
	v_perm_b32 v168, v47, v46, s52                             // 0000000084FC: D1ED00A8 00D25D2F
	v_cmp_u_f32_e64 s[48:49], v178, v178                       // 000000008504: D0480030 000365B2
	v_add3_u32 v40, v178, v43, 1                               // 00000000850C: D1FF0028 020657B2
	v_cndmask_b32_e64 v46, v40, v42, s[48:49]                  // 000000008514: D100002E 00C25528
	v_cmp_u_f32_e64 s[48:49], v179, v179                       // 00000000851C: D0480030 000367B3
	v_add3_u32 v40, v179, v43, 1                               // 000000008524: D1FF0028 020657B3
	v_cndmask_b32_e64 v47, v40, v42, s[48:49]                  // 00000000852C: D100002F 00C25528
	v_perm_b32 v169, v47, v46, s52                             // 000000008534: D1ED00A9 00D25D2F
	v_cmp_u_f32_e64 s[48:49], v180, v180                       // 00000000853C: D0480030 000369B4
	v_add3_u32 v40, v180, v43, 1                               // 000000008544: D1FF0028 020657B4
	v_cndmask_b32_e64 v46, v40, v42, s[48:49]                  // 00000000854C: D100002E 00C25528
	v_cmp_u_f32_e64 s[48:49], v181, v181                       // 000000008554: D0480030 00036BB5
	v_add3_u32 v40, v181, v43, 1                               // 00000000855C: D1FF0028 020657B5
	v_cndmask_b32_e64 v47, v40, v42, s[48:49]                  // 000000008564: D100002F 00C25528
	v_perm_b32 v170, v47, v46, s52                             // 00000000856C: D1ED00AA 00D25D2F
	v_cmp_u_f32_e64 s[48:49], v182, v182                       // 000000008574: D0480030 00036DB6
	v_add3_u32 v40, v182, v43, 1                               // 00000000857C: D1FF0028 020657B6
	v_cndmask_b32_e64 v46, v40, v42, s[48:49]                  // 000000008584: D100002E 00C25528
	v_cmp_u_f32_e64 s[48:49], v183, v183                       // 00000000858C: D0480030 00036FB7
	v_add3_u32 v40, v183, v43, 1                               // 000000008594: D1FF0028 020657B7
	v_cndmask_b32_e64 v47, v40, v42, s[48:49]                  // 00000000859C: D100002F 00C25528
	v_perm_b32 v171, v47, v46, s52                             // 0000000085A4: D1ED00AB 00D25D2F
	v_cmp_u_f32_e64 s[48:49], v184, v184                       // 0000000085AC: D0480030 000371B8
	v_add3_u32 v40, v184, v43, 1                               // 0000000085B4: D1FF0028 020657B8
	v_cndmask_b32_e64 v46, v40, v42, s[48:49]                  // 0000000085BC: D100002E 00C25528
	v_cmp_u_f32_e64 s[48:49], v185, v185                       // 0000000085C4: D0480030 000373B9
	v_add3_u32 v40, v185, v43, 1                               // 0000000085CC: D1FF0028 020657B9
	v_cndmask_b32_e64 v47, v40, v42, s[48:49]                  // 0000000085D4: D100002F 00C25528
	v_perm_b32 v172, v47, v46, s52                             // 0000000085DC: D1ED00AC 00D25D2F
	v_cmp_u_f32_e64 s[48:49], v186, v186                       // 0000000085E4: D0480030 000375BA
	v_add3_u32 v40, v186, v43, 1                               // 0000000085EC: D1FF0028 020657BA
	v_cndmask_b32_e64 v46, v40, v42, s[48:49]                  // 0000000085F4: D100002E 00C25528
	v_cmp_u_f32_e64 s[48:49], v187, v187                       // 0000000085FC: D0480030 000377BB
	v_add3_u32 v40, v187, v43, 1                               // 000000008604: D1FF0028 020657BB
	v_cndmask_b32_e64 v47, v40, v42, s[48:49]                  // 00000000860C: D100002F 00C25528
	v_perm_b32 v173, v47, v46, s52                             // 000000008614: D1ED00AD 00D25D2F
	v_cmp_u_f32_e64 s[48:49], v188, v188                       // 00000000861C: D0480030 000379BC
	v_add3_u32 v40, v188, v43, 1                               // 000000008624: D1FF0028 020657BC
	v_cndmask_b32_e64 v46, v40, v42, s[48:49]                  // 00000000862C: D100002E 00C25528
	v_cmp_u_f32_e64 s[48:49], v189, v189                       // 000000008634: D0480030 00037BBD
	v_add3_u32 v40, v189, v43, 1                               // 00000000863C: D1FF0028 020657BD
	v_cndmask_b32_e64 v47, v40, v42, s[48:49]                  // 000000008644: D100002F 00C25528
	v_perm_b32 v174, v47, v46, s52                             // 00000000864C: D1ED00AE 00D25D2F
	v_cmp_u_f32_e64 s[48:49], v190, v190                       // 000000008654: D0480030 00037DBE
	v_add3_u32 v40, v190, v43, 1                               // 00000000865C: D1FF0028 020657BE
	v_cndmask_b32_e64 v46, v40, v42, s[48:49]                  // 000000008664: D100002E 00C25528
	v_cmp_u_f32_e64 s[48:49], v191, v191                       // 00000000866C: D0480030 00037FBF
	v_add3_u32 v40, v191, v43, 1                               // 000000008674: D1FF0028 020657BF
	v_cndmask_b32_e64 v47, v40, v42, s[48:49]                  // 00000000867C: D100002F 00C25528
	v_perm_b32 v175, v47, v46, s52                             // 000000008684: D1ED00AF 00D25D2F
	ds_write_b64 v3, v[160:161] offset:26880                   // 00000000868C: D89A6900 0000A003
	ds_write_b64 v3, v[162:163] offset:35584                   // 000000008694: D89A8B00 0000A203
	ds_write_b64 v3, v[164:165] offset:29056                   // 00000000869C: D89A7180 0000A403
	ds_write_b64 v3, v[166:167] offset:37760                   // 0000000086A4: D89A9380 0000A603
	ds_write_b64 v3, v[168:169] offset:31232                   // 0000000086AC: D89A7A00 0000A803
	ds_write_b64 v3, v[170:171] offset:39936                   // 0000000086B4: D89A9C00 0000AA03
	ds_write_b64 v3, v[172:173] offset:33408                   // 0000000086BC: D89A8280 0000AC03
	ds_write_b64 v3, v[174:175] offset:42112                   // 0000000086C4: D89AA480 0000AE03
	s_waitcnt lgkmcnt(0)                                       // 0000000086CC: BF8CC07F
	s_barrier                                                  // 0000000086D0: BF8A0000
	ds_read_b32 v64, v4 offset:26880                           // 0000000086D4: D86C6900 40000004
	ds_read_b32 v65, v4 offset:31232                           // 0000000086DC: D86C7A00 41000004
	ds_read_b32 v66, v4 offset:26912                           // 0000000086E4: D86C6920 42000004
	ds_read_b32 v67, v4 offset:31264                           // 0000000086EC: D86C7A20 43000004
	ds_read_b32 v68, v4 offset:26944                           // 0000000086F4: D86C6940 44000004
	ds_read_b32 v69, v4 offset:31296                           // 0000000086FC: D86C7A40 45000004
	ds_read_b32 v70, v4 offset:26976                           // 000000008704: D86C6960 46000004
	ds_read_b32 v71, v4 offset:31328                           // 00000000870C: D86C7A60 47000004
	ds_read_b32 v72, v4 offset:35584                           // 000000008714: D86C8B00 48000004
	ds_read_b32 v73, v4 offset:39936                           // 00000000871C: D86C9C00 49000004
	ds_read_b32 v74, v4 offset:35616                           // 000000008724: D86C8B20 4A000004
	ds_read_b32 v75, v4 offset:39968                           // 00000000872C: D86C9C20 4B000004
	ds_read_b32 v76, v4 offset:35648                           // 000000008734: D86C8B40 4C000004
	ds_read_b32 v77, v4 offset:40000                           // 00000000873C: D86C9C40 4D000004
	ds_read_b32 v78, v4 offset:35680                           // 000000008744: D86C8B60 4E000004
	ds_read_b32 v79, v4 offset:40032                           // 00000000874C: D86C9C60 4F000004
	s_waitcnt lgkmcnt(0)                                       // 000000008754: BF8CC07F
	s_mov_b64 exec, s[20:21]                                   // 000000008758: BEFE0114
	global_atomic_pk_add_bf16 v80, v64, s[8:9]                 // 00000000875C: DD488000 00084050
	s_mov_b64 exec, s[36:37]                                   // 000000008764: BEFE0124
	s_mov_b64 exec, s[20:21]                                   // 000000008768: BEFE0114
	global_atomic_pk_add_bf16 v80, v65, s[8:9] offset:256      // 00000000876C: DD488100 00084150
	s_mov_b64 exec, s[36:37]                                   // 000000008774: BEFE0124
	s_mov_b64 exec, s[22:23]                                   // 000000008778: BEFE0116
	global_atomic_pk_add_bf16 v82, v66, s[8:9]                 // 00000000877C: DD488000 00084252
	s_mov_b64 exec, s[36:37]                                   // 000000008784: BEFE0124
	s_mov_b64 exec, s[22:23]                                   // 000000008788: BEFE0116
	global_atomic_pk_add_bf16 v82, v67, s[8:9] offset:256      // 00000000878C: DD488100 00084352
	s_mov_b64 exec, s[36:37]                                   // 000000008794: BEFE0124
	s_mov_b64 exec, s[24:25]                                   // 000000008798: BEFE0118
	global_atomic_pk_add_bf16 v84, v68, s[8:9]                 // 00000000879C: DD488000 00084454
	s_mov_b64 exec, s[36:37]                                   // 0000000087A4: BEFE0124
	s_mov_b64 exec, s[24:25]                                   // 0000000087A8: BEFE0118
	global_atomic_pk_add_bf16 v84, v69, s[8:9] offset:256      // 0000000087AC: DD488100 00084554
	s_mov_b64 exec, s[36:37]                                   // 0000000087B4: BEFE0124
	s_mov_b64 exec, s[26:27]                                   // 0000000087B8: BEFE011A
	global_atomic_pk_add_bf16 v86, v70, s[8:9]                 // 0000000087BC: DD488000 00084656
	s_mov_b64 exec, s[36:37]                                   // 0000000087C4: BEFE0124
	s_mov_b64 exec, s[26:27]                                   // 0000000087C8: BEFE011A
	global_atomic_pk_add_bf16 v86, v71, s[8:9] offset:256      // 0000000087CC: DD488100 00084756
	s_mov_b64 exec, s[36:37]                                   // 0000000087D4: BEFE0124
	s_mov_b64 exec, s[28:29]                                   // 0000000087D8: BEFE011C
	global_atomic_pk_add_bf16 v88, v72, s[8:9]                 // 0000000087DC: DD488000 00084858
	s_mov_b64 exec, s[36:37]                                   // 0000000087E4: BEFE0124
	s_mov_b64 exec, s[28:29]                                   // 0000000087E8: BEFE011C
	global_atomic_pk_add_bf16 v88, v73, s[8:9] offset:256      // 0000000087EC: DD488100 00084958
	s_mov_b64 exec, s[36:37]                                   // 0000000087F4: BEFE0124
	s_mov_b64 exec, s[30:31]                                   // 0000000087F8: BEFE011E
	global_atomic_pk_add_bf16 v90, v74, s[8:9]                 // 0000000087FC: DD488000 00084A5A
	s_mov_b64 exec, s[36:37]                                   // 000000008804: BEFE0124
	s_mov_b64 exec, s[30:31]                                   // 000000008808: BEFE011E
	global_atomic_pk_add_bf16 v90, v75, s[8:9] offset:256      // 00000000880C: DD488100 00084B5A
	s_mov_b64 exec, s[36:37]                                   // 000000008814: BEFE0124
	s_mov_b64 exec, s[32:33]                                   // 000000008818: BEFE0120
	global_atomic_pk_add_bf16 v92, v76, s[8:9]                 // 00000000881C: DD488000 00084C5C
	s_mov_b64 exec, s[36:37]                                   // 000000008824: BEFE0124
	s_mov_b64 exec, s[32:33]                                   // 000000008828: BEFE0120
	global_atomic_pk_add_bf16 v92, v77, s[8:9] offset:256      // 00000000882C: DD488100 00084D5C
	s_mov_b64 exec, s[36:37]                                   // 000000008834: BEFE0124
	s_mov_b64 exec, s[34:35]                                   // 000000008838: BEFE0122
	global_atomic_pk_add_bf16 v94, v78, s[8:9]                 // 00000000883C: DD488000 00084E5E
	s_mov_b64 exec, s[36:37]                                   // 000000008844: BEFE0124
	s_mov_b64 exec, s[34:35]                                   // 000000008848: BEFE0122
	global_atomic_pk_add_bf16 v94, v79, s[8:9] offset:256      // 00000000884C: DD488100 00084F5E
	s_mov_b64 exec, s[36:37]                                   // 000000008854: BEFE0124
	s_add_u32 s8, s59, s8                                      // 000000008858: 8008083B
	s_addc_u32 s9, 0, s9                                       // 00000000885C: 82090980
	s_addk_i32 s80, 0x100                                      // 000000008860: B7500100
	s_cmp_lt_i32 s80, s81                                      // 000000008864: BF045150
	s_cbranch_scc0 label_0E16                                  // 000000008868: BF84F6BB
	s_waitcnt vmcnt(29)                                        // 00000000886C: BF8C4F7D
	s_barrier                                                  // 000000008870: BF8A0000
	v_mfma_f32_16x16x32_fp8_fp8 v[192:195], a[64:65], v[128:129], 0// 000000008874: D3F300C0 0A030140
	buffer_load_dwordx4 a[0:3], v36, s[12:15], 0 offen         // 00000000887C: E05C1000 80830024
	v_mfma_f32_16x16x32_fp8_fp8 v[192:195], a[66:67], v[130:131], v[192:195]// 000000008884: D3F300C0 0F030542
	v_mfma_f32_16x16x32_fp8_fp8 v[196:199], a[64:65], v[144:145], 0// 00000000888C: D3F300C4 0A032140
	v_mfma_f32_16x16x32_fp8_fp8 v[196:199], a[66:67], v[146:147], v[196:199]// 000000008894: D3F300C4 0F132542
	v_mfma_f32_16x16x32_fp8_fp8 v[200:203], a[68:69], v[128:129], 0// 00000000889C: D3F300C8 0A030144
	buffer_load_dwordx4 a[4:7], v37, s[12:15], 0 offen         // 0000000088A4: E05C1000 80830425
	v_mfma_f32_16x16x32_fp8_fp8 v[200:203], a[70:71], v[130:131], v[200:203]// 0000000088AC: D3F300C8 0F230546
	v_mfma_f32_16x16x32_fp8_fp8 v[204:207], a[68:69], v[144:145], 0// 0000000088B4: D3F300CC 0A032144
	v_mfma_f32_16x16x32_fp8_fp8 v[204:207], a[70:71], v[146:147], v[204:207]// 0000000088BC: D3F300CC 0F332546
	v_mfma_f32_16x16x32_fp8_fp8 v[208:211], a[72:73], v[128:129], 0// 0000000088C4: D3F300D0 0A030148
	buffer_load_dwordx4 a[8:11], v38, s[12:15], 0 offen        // 0000000088CC: E05C1000 80830826
	v_mfma_f32_16x16x32_fp8_fp8 v[208:211], a[74:75], v[130:131], v[208:211]// 0000000088D4: D3F300D0 0F43054A
	v_mfma_f32_16x16x32_fp8_fp8 v[212:215], a[72:73], v[144:145], 0// 0000000088DC: D3F300D4 0A032148
	v_mfma_f32_16x16x32_fp8_fp8 v[212:215], a[74:75], v[146:147], v[212:215]// 0000000088E4: D3F300D4 0F53254A
	v_mfma_f32_16x16x32_fp8_fp8 v[216:219], a[76:77], v[128:129], 0// 0000000088EC: D3F300D8 0A03014C
	buffer_load_dwordx4 a[12:15], v39, s[12:15], 0 offen       // 0000000088F4: E05C1000 80830C27
	s_add_u32 s12, s78, s12                                    // 0000000088FC: 800C0C4E
	s_addc_u32 s13, 0, s13                                     // 000000008900: 820D0D80
	v_mfma_f32_16x16x32_fp8_fp8 v[216:219], a[78:79], v[130:131], v[216:219]// 000000008904: D3F300D8 0F63054E
	v_mfma_f32_16x16x32_fp8_fp8 v[220:223], a[76:77], v[144:145], 0// 00000000890C: D3F300DC 0A03214C
	v_mfma_f32_16x16x32_fp8_fp8 v[220:223], a[78:79], v[146:147], v[220:223]// 000000008914: D3F300DC 0F73254E
	s_waitcnt vmcnt(29)                                        // 00000000891C: BF8C4F7D
	v_mfma_f32_16x16x32_fp8_fp8 v[192:195], a[80:81], v[132:133], v[192:195]// 000000008920: D3F300C0 0F030950
	buffer_load_dwordx4 a[16:19], v36, s[12:15], 0 offen       // 000000008928: E05C1000 80831024
	v_mfma_f32_16x16x32_fp8_fp8 v[192:195], a[82:83], v[134:135], v[192:195]// 000000008930: D3F300C0 0F030D52
	v_mfma_f32_16x16x32_fp8_fp8 v[196:199], a[80:81], v[148:149], v[196:199]// 000000008938: D3F300C4 0F132950
	v_mfma_f32_16x16x32_fp8_fp8 v[196:199], a[82:83], v[150:151], v[196:199]// 000000008940: D3F300C4 0F132D52
	v_mfma_f32_16x16x32_fp8_fp8 v[200:203], a[84:85], v[132:133], v[200:203]// 000000008948: D3F300C8 0F230954
	buffer_load_dwordx4 a[20:23], v37, s[12:15], 0 offen       // 000000008950: E05C1000 80831425
	v_mfma_f32_16x16x32_fp8_fp8 v[200:203], a[86:87], v[134:135], v[200:203]// 000000008958: D3F300C8 0F230D56
	v_mfma_f32_16x16x32_fp8_fp8 v[204:207], a[84:85], v[148:149], v[204:207]// 000000008960: D3F300CC 0F332954
	v_mfma_f32_16x16x32_fp8_fp8 v[204:207], a[86:87], v[150:151], v[204:207]// 000000008968: D3F300CC 0F332D56
	v_mfma_f32_16x16x32_fp8_fp8 v[208:211], a[88:89], v[132:133], v[208:211]// 000000008970: D3F300D0 0F430958
	buffer_load_dwordx4 a[24:27], v38, s[12:15], 0 offen       // 000000008978: E05C1000 80831826
	v_mfma_f32_16x16x32_fp8_fp8 v[208:211], a[90:91], v[134:135], v[208:211]// 000000008980: D3F300D0 0F430D5A
	v_mfma_f32_16x16x32_fp8_fp8 v[212:215], a[88:89], v[148:149], v[212:215]// 000000008988: D3F300D4 0F532958
	v_mfma_f32_16x16x32_fp8_fp8 v[212:215], a[90:91], v[150:151], v[212:215]// 000000008990: D3F300D4 0F532D5A
	v_mfma_f32_16x16x32_fp8_fp8 v[216:219], a[92:93], v[132:133], v[216:219]// 000000008998: D3F300D8 0F63095C
	buffer_load_dwordx4 a[28:31], v39, s[12:15], 0 offen       // 0000000089A0: E05C1000 80831C27
	s_add_u32 s12, s78, s12                                    // 0000000089A8: 800C0C4E
	s_addc_u32 s13, 0, s13                                     // 0000000089AC: 820D0D80
	v_mfma_f32_16x16x32_fp8_fp8 v[216:219], a[94:95], v[134:135], v[216:219]// 0000000089B0: D3F300D8 0F630D5E
	v_mfma_f32_16x16x32_fp8_fp8 v[220:223], a[92:93], v[148:149], v[220:223]// 0000000089B8: D3F300DC 0F73295C
	v_mfma_f32_16x16x32_fp8_fp8 v[220:223], a[94:95], v[150:151], v[220:223]// 0000000089C0: D3F300DC 0F732D5E
	s_waitcnt vmcnt(29)                                        // 0000000089C8: BF8C4F7D
	v_mfma_f32_16x16x32_fp8_fp8 v[192:195], a[96:97], v[136:137], v[192:195]// 0000000089CC: D3F300C0 0F031160
	buffer_load_dwordx4 a[32:35], v36, s[12:15], 0 offen       // 0000000089D4: E05C1000 80832024
	v_mfma_f32_16x16x32_fp8_fp8 v[192:195], a[98:99], v[138:139], v[192:195]// 0000000089DC: D3F300C0 0F031562
	v_mfma_f32_16x16x32_fp8_fp8 v[196:199], a[96:97], v[152:153], v[196:199]// 0000000089E4: D3F300C4 0F133160
	v_mfma_f32_16x16x32_fp8_fp8 v[196:199], a[98:99], v[154:155], v[196:199]// 0000000089EC: D3F300C4 0F133562
	v_mfma_f32_16x16x32_fp8_fp8 v[200:203], a[100:101], v[136:137], v[200:203]// 0000000089F4: D3F300C8 0F231164
	buffer_load_dwordx4 a[36:39], v37, s[12:15], 0 offen       // 0000000089FC: E05C1000 80832425
	v_mfma_f32_16x16x32_fp8_fp8 v[200:203], a[102:103], v[138:139], v[200:203]// 000000008A04: D3F300C8 0F231566
	v_mfma_f32_16x16x32_fp8_fp8 v[204:207], a[100:101], v[152:153], v[204:207]// 000000008A0C: D3F300CC 0F333164
	v_mfma_f32_16x16x32_fp8_fp8 v[204:207], a[102:103], v[154:155], v[204:207]// 000000008A14: D3F300CC 0F333566
	v_mfma_f32_16x16x32_fp8_fp8 v[208:211], a[104:105], v[136:137], v[208:211]// 000000008A1C: D3F300D0 0F431168
	buffer_load_dwordx4 a[40:43], v38, s[12:15], 0 offen       // 000000008A24: E05C1000 80832826
	v_mfma_f32_16x16x32_fp8_fp8 v[208:211], a[106:107], v[138:139], v[208:211]// 000000008A2C: D3F300D0 0F43156A
	v_mfma_f32_16x16x32_fp8_fp8 v[212:215], a[104:105], v[152:153], v[212:215]// 000000008A34: D3F300D4 0F533168
	v_mfma_f32_16x16x32_fp8_fp8 v[212:215], a[106:107], v[154:155], v[212:215]// 000000008A3C: D3F300D4 0F53356A
	v_mfma_f32_16x16x32_fp8_fp8 v[216:219], a[108:109], v[136:137], v[216:219]// 000000008A44: D3F300D8 0F63116C
	buffer_load_dwordx4 a[44:47], v39, s[12:15], 0 offen       // 000000008A4C: E05C1000 80832C27
	s_add_u32 s12, s78, s12                                    // 000000008A54: 800C0C4E
	s_addc_u32 s13, 0, s13                                     // 000000008A58: 820D0D80
	v_mfma_f32_16x16x32_fp8_fp8 v[216:219], a[110:111], v[138:139], v[216:219]// 000000008A5C: D3F300D8 0F63156E
	v_mfma_f32_16x16x32_fp8_fp8 v[220:223], a[108:109], v[152:153], v[220:223]// 000000008A64: D3F300DC 0F73316C
	v_mfma_f32_16x16x32_fp8_fp8 v[220:223], a[110:111], v[154:155], v[220:223]// 000000008A6C: D3F300DC 0F73356E
	s_waitcnt vmcnt(28)                                        // 000000008A74: BF8C4F7C
	v_mfma_f32_16x16x32_fp8_fp8 v[192:195], a[112:113], v[140:141], v[192:195]// 000000008A78: D3F300C0 0F031970
	buffer_load_dwordx4 a[48:51], v36, s[12:15], 0 offen       // 000000008A80: E05C1000 80833024
	v_mfma_f32_16x16x32_fp8_fp8 v[192:195], a[114:115], v[142:143], v[192:195]// 000000008A88: D3F300C0 0F031D72
	v_mfma_f32_16x16x32_fp8_fp8 v[196:199], a[112:113], v[156:157], v[196:199]// 000000008A90: D3F300C4 0F133970
	buffer_load_dword v11, v5, s[16:19], 0 offen               // 000000008A98: E0501000 80040B05
	v_mfma_f32_16x16x32_fp8_fp8 v[196:199], a[114:115], v[158:159], v[196:199]// 000000008AA0: D3F300C4 0F133D72
	v_mfma_f32_16x16x32_fp8_fp8 v[200:203], a[116:117], v[140:141], v[200:203]// 000000008AA8: D3F300C8 0F231974
	buffer_load_dwordx4 a[52:55], v37, s[12:15], 0 offen       // 000000008AB0: E05C1000 80833425
	v_mfma_f32_16x16x32_fp8_fp8 v[200:203], a[118:119], v[142:143], v[200:203]// 000000008AB8: D3F300C8 0F231D76
	v_mfma_f32_16x16x32_fp8_fp8 v[204:207], a[116:117], v[156:157], v[204:207]// 000000008AC0: D3F300CC 0F333974
	v_mfma_f32_16x16x32_fp8_fp8 v[204:207], a[118:119], v[158:159], v[204:207]// 000000008AC8: D3F300CC 0F333D76
	v_mfma_f32_16x16x32_fp8_fp8 v[208:211], a[120:121], v[140:141], v[208:211]// 000000008AD0: D3F300D0 0F431978
	buffer_load_dwordx4 a[56:59], v38, s[12:15], 0 offen       // 000000008AD8: E05C1000 80833826
	v_mfma_f32_16x16x32_fp8_fp8 v[208:211], a[122:123], v[142:143], v[208:211]// 000000008AE0: D3F300D0 0F431D7A
	v_mfma_f32_16x16x32_fp8_fp8 v[212:215], a[120:121], v[156:157], v[212:215]// 000000008AE8: D3F300D4 0F533978
	v_mfma_f32_16x16x32_fp8_fp8 v[212:215], a[122:123], v[158:159], v[212:215]// 000000008AF0: D3F300D4 0F533D7A
	v_mfma_f32_16x16x32_fp8_fp8 v[216:219], a[124:125], v[140:141], v[216:219]// 000000008AF8: D3F300D8 0F63197C
	buffer_load_dwordx4 a[60:63], v39, s[12:15], 0 offen       // 000000008B00: E05C1000 80833C27
	v_mfma_f32_16x16x32_fp8_fp8 v[216:219], a[126:127], v[142:143], v[216:219]// 000000008B08: D3F300D8 0F631D7E
	v_mfma_f32_16x16x32_fp8_fp8 v[220:223], a[124:125], v[156:157], v[220:223]// 000000008B10: D3F300DC 0F73397C
	v_mfma_f32_16x16x32_fp8_fp8 v[220:223], a[126:127], v[158:159], v[220:223]// 000000008B18: D3F300DC 0F733D7E
	s_add_u32 s60, 0x200, s80                                  // 000000008B20: 803C50FF 00000200
	s_cmp_lt_u32 s60, s81                                      // 000000008B28: BF0A513C
	s_cselect_b32 s56, s56, 0                                  // 000000008B2C: 85388038
	s_cselect_b32 s78, s78, 0                                  // 000000008B30: 854E804E
	s_cselect_b32 s79, s79, 0                                  // 000000008B34: 854F804F
	s_add_u32 s12, s56, s12                                    // 000000008B38: 800C0C38
	s_addc_u32 s13, 0, s13                                     // 000000008B3C: 820D0D80
	s_add_u32 s16, s79, s16                                    // 000000008B40: 8010104F
	s_addc_u32 s17, 0, s17                                     // 000000008B44: 82111180
	v_mul_f32_e32 v192, v22, v192                              // 000000008B48: 0B818116
	v_mul_f32_e32 v193, v22, v193                              // 000000008B4C: 0B838316
	v_mul_f32_e32 v194, v22, v194                              // 000000008B50: 0B858516
	v_mul_f32_e32 v195, v22, v195                              // 000000008B54: 0B878716
	v_mul_f32_dpp v192, v12, v192 row_newbcast:0 row_mask:0xf bank_mask:0xf// 000000008B58: 0B8180FA FF01500C
	v_mul_f32_dpp v193, v12, v193 row_newbcast:1 row_mask:0xf bank_mask:0xf// 000000008B60: 0B8382FA FF01510C
	v_mul_f32_dpp v194, v12, v194 row_newbcast:2 row_mask:0xf bank_mask:0xf// 000000008B68: 0B8584FA FF01520C
	v_mul_f32_dpp v195, v12, v195 row_newbcast:3 row_mask:0xf bank_mask:0xf// 000000008B70: 0B8786FA FF01530C
	v_mul_f32_e32 v192, v17, v192                              // 000000008B78: 0B818111
	v_mul_f32_e32 v193, v17, v193                              // 000000008B7C: 0B838311
	v_mul_f32_e32 v194, v17, v194                              // 000000008B80: 0B858511
	v_mul_f32_e32 v195, v17, v195                              // 000000008B84: 0B878711
	v_mul_f32_e32 v196, v23, v196                              // 000000008B88: 0B898917
	v_mul_f32_e32 v197, v23, v197                              // 000000008B8C: 0B8B8B17
	v_mul_f32_e32 v198, v23, v198                              // 000000008B90: 0B8D8D17
	v_mul_f32_e32 v199, v23, v199                              // 000000008B94: 0B8F8F17
	v_mul_f32_dpp v196, v12, v196 row_newbcast:0 row_mask:0xf bank_mask:0xf// 000000008B98: 0B8988FA FF01500C
	v_mul_f32_dpp v197, v12, v197 row_newbcast:1 row_mask:0xf bank_mask:0xf// 000000008BA0: 0B8B8AFA FF01510C
	v_mul_f32_dpp v198, v12, v198 row_newbcast:2 row_mask:0xf bank_mask:0xf// 000000008BA8: 0B8D8CFA FF01520C
	v_mul_f32_dpp v199, v12, v199 row_newbcast:3 row_mask:0xf bank_mask:0xf// 000000008BB0: 0B8F8EFA FF01530C
	v_mul_f32_e32 v196, v18, v196                              // 000000008BB8: 0B898912
	v_mul_f32_e32 v197, v18, v197                              // 000000008BBC: 0B8B8B12
	v_mul_f32_e32 v198, v18, v198                              // 000000008BC0: 0B8D8D12
	v_mul_f32_e32 v199, v18, v199                              // 000000008BC4: 0B8F8F12
	v_mul_f32_e32 v200, v22, v200                              // 000000008BC8: 0B919116
	v_mul_f32_e32 v201, v22, v201                              // 000000008BCC: 0B939316
	v_mul_f32_e32 v202, v22, v202                              // 000000008BD0: 0B959516
	v_mul_f32_e32 v203, v22, v203                              // 000000008BD4: 0B979716
	v_mul_f32_dpp v200, v12, v200 row_newbcast:4 row_mask:0xf bank_mask:0xf// 000000008BD8: 0B9190FA FF01540C
	v_mul_f32_dpp v201, v12, v201 row_newbcast:5 row_mask:0xf bank_mask:0xf// 000000008BE0: 0B9392FA FF01550C
	v_mul_f32_dpp v202, v12, v202 row_newbcast:6 row_mask:0xf bank_mask:0xf// 000000008BE8: 0B9594FA FF01560C
	v_mul_f32_dpp v203, v12, v203 row_newbcast:7 row_mask:0xf bank_mask:0xf// 000000008BF0: 0B9796FA FF01570C
	v_mul_f32_e32 v200, v17, v200                              // 000000008BF8: 0B919111
	v_mul_f32_e32 v201, v17, v201                              // 000000008BFC: 0B939311
	v_mul_f32_e32 v202, v17, v202                              // 000000008C00: 0B959511
	v_mul_f32_e32 v203, v17, v203                              // 000000008C04: 0B979711
	v_mul_f32_e32 v204, v23, v204                              // 000000008C08: 0B999917
	v_mul_f32_e32 v205, v23, v205                              // 000000008C0C: 0B9B9B17
	v_mul_f32_e32 v206, v23, v206                              // 000000008C10: 0B9D9D17
	v_mul_f32_e32 v207, v23, v207                              // 000000008C14: 0B9F9F17
	v_mul_f32_dpp v204, v12, v204 row_newbcast:4 row_mask:0xf bank_mask:0xf// 000000008C18: 0B9998FA FF01540C
	v_mul_f32_dpp v205, v12, v205 row_newbcast:5 row_mask:0xf bank_mask:0xf// 000000008C20: 0B9B9AFA FF01550C
	v_mul_f32_dpp v206, v12, v206 row_newbcast:6 row_mask:0xf bank_mask:0xf// 000000008C28: 0B9D9CFA FF01560C
	v_mul_f32_dpp v207, v12, v207 row_newbcast:7 row_mask:0xf bank_mask:0xf// 000000008C30: 0B9F9EFA FF01570C
	v_mul_f32_e32 v204, v18, v204                              // 000000008C38: 0B999912
	v_mul_f32_e32 v205, v18, v205                              // 000000008C3C: 0B9B9B12
	v_mul_f32_e32 v206, v18, v206                              // 000000008C40: 0B9D9D12
	v_mul_f32_e32 v207, v18, v207                              // 000000008C44: 0B9F9F12
	v_mul_f32_e32 v208, v22, v208                              // 000000008C48: 0BA1A116
	v_mul_f32_e32 v209, v22, v209                              // 000000008C4C: 0BA3A316
	v_mul_f32_e32 v210, v22, v210                              // 000000008C50: 0BA5A516
	v_mul_f32_e32 v211, v22, v211                              // 000000008C54: 0BA7A716
	v_mul_f32_dpp v208, v12, v208 row_newbcast:8 row_mask:0xf bank_mask:0xf// 000000008C58: 0BA1A0FA FF01580C
	v_mul_f32_dpp v209, v12, v209 row_newbcast:9 row_mask:0xf bank_mask:0xf// 000000008C60: 0BA3A2FA FF01590C
	v_mul_f32_dpp v210, v12, v210 row_newbcast:10 row_mask:0xf bank_mask:0xf// 000000008C68: 0BA5A4FA FF015A0C
	v_mul_f32_dpp v211, v12, v211 row_newbcast:11 row_mask:0xf bank_mask:0xf// 000000008C70: 0BA7A6FA FF015B0C
	v_mul_f32_e32 v208, v17, v208                              // 000000008C78: 0BA1A111
	v_mul_f32_e32 v209, v17, v209                              // 000000008C7C: 0BA3A311
	v_mul_f32_e32 v210, v17, v210                              // 000000008C80: 0BA5A511
	v_mul_f32_e32 v211, v17, v211                              // 000000008C84: 0BA7A711
	v_mul_f32_e32 v212, v23, v212                              // 000000008C88: 0BA9A917
	v_mul_f32_e32 v213, v23, v213                              // 000000008C8C: 0BABAB17
	v_mul_f32_e32 v214, v23, v214                              // 000000008C90: 0BADAD17
	v_mul_f32_e32 v215, v23, v215                              // 000000008C94: 0BAFAF17
	v_mul_f32_dpp v212, v12, v212 row_newbcast:8 row_mask:0xf bank_mask:0xf// 000000008C98: 0BA9A8FA FF01580C
	v_mul_f32_dpp v213, v12, v213 row_newbcast:9 row_mask:0xf bank_mask:0xf// 000000008CA0: 0BABAAFA FF01590C
	v_mul_f32_dpp v214, v12, v214 row_newbcast:10 row_mask:0xf bank_mask:0xf// 000000008CA8: 0BADACFA FF015A0C
	v_mul_f32_dpp v215, v12, v215 row_newbcast:11 row_mask:0xf bank_mask:0xf// 000000008CB0: 0BAFAEFA FF015B0C
	v_mul_f32_e32 v212, v18, v212                              // 000000008CB8: 0BA9A912
	v_mul_f32_e32 v213, v18, v213                              // 000000008CBC: 0BABAB12
	v_mul_f32_e32 v214, v18, v214                              // 000000008CC0: 0BADAD12
	v_mul_f32_e32 v215, v18, v215                              // 000000008CC4: 0BAFAF12
	v_mul_f32_e32 v216, v22, v216                              // 000000008CC8: 0BB1B116
	v_mul_f32_e32 v217, v22, v217                              // 000000008CCC: 0BB3B316
	v_mul_f32_e32 v218, v22, v218                              // 000000008CD0: 0BB5B516
	v_mul_f32_e32 v219, v22, v219                              // 000000008CD4: 0BB7B716
	v_mul_f32_dpp v216, v12, v216 row_newbcast:12 row_mask:0xf bank_mask:0xf// 000000008CD8: 0BB1B0FA FF015C0C
	v_mul_f32_dpp v217, v12, v217 row_newbcast:13 row_mask:0xf bank_mask:0xf// 000000008CE0: 0BB3B2FA FF015D0C
	v_mul_f32_dpp v218, v12, v218 row_newbcast:14 row_mask:0xf bank_mask:0xf// 000000008CE8: 0BB5B4FA FF015E0C
	v_mul_f32_dpp v219, v12, v219 row_newbcast:15 row_mask:0xf bank_mask:0xf// 000000008CF0: 0BB7B6FA FF015F0C
	v_mul_f32_e32 v216, v17, v216                              // 000000008CF8: 0BB1B111
	v_mul_f32_e32 v217, v17, v217                              // 000000008CFC: 0BB3B311
	v_mul_f32_e32 v218, v17, v218                              // 000000008D00: 0BB5B511
	v_mul_f32_e32 v219, v17, v219                              // 000000008D04: 0BB7B711
	v_mul_f32_e32 v220, v23, v220                              // 000000008D08: 0BB9B917
	v_mul_f32_e32 v221, v23, v221                              // 000000008D0C: 0BBBBB17
	v_mul_f32_e32 v222, v23, v222                              // 000000008D10: 0BBDBD17
	v_mul_f32_e32 v223, v23, v223                              // 000000008D14: 0BBFBF17
	v_mul_f32_dpp v220, v12, v220 row_newbcast:12 row_mask:0xf bank_mask:0xf// 000000008D18: 0BB9B8FA FF015C0C
	v_mul_f32_dpp v221, v12, v221 row_newbcast:13 row_mask:0xf bank_mask:0xf// 000000008D20: 0BBBBAFA FF015D0C
	v_mul_f32_dpp v222, v12, v222 row_newbcast:14 row_mask:0xf bank_mask:0xf// 000000008D28: 0BBDBCFA FF015E0C
	v_mul_f32_dpp v223, v12, v223 row_newbcast:15 row_mask:0xf bank_mask:0xf// 000000008D30: 0BBFBEFA FF015F0C
	v_mul_f32_e32 v220, v18, v220                              // 000000008D38: 0BB9B912
	v_mul_f32_e32 v221, v18, v221                              // 000000008D3C: 0BBBBB12
	v_mul_f32_e32 v222, v18, v222                              // 000000008D40: 0BBDBD12
	v_mul_f32_e32 v223, v18, v223                              // 000000008D44: 0BBFBF12
	v_cmp_u_f32_e64 s[48:49], v192, v192                       // 000000008D48: D0480030 000381C0
	v_add3_u32 v40, v192, v43, 1                               // 000000008D50: D1FF0028 020657C0
	v_cndmask_b32_e64 v46, v40, v42, s[48:49]                  // 000000008D58: D100002E 00C25528
	v_cmp_u_f32_e64 s[48:49], v193, v193                       // 000000008D60: D0480030 000383C1
	v_add3_u32 v40, v193, v43, 1                               // 000000008D68: D1FF0028 020657C1
	v_cndmask_b32_e64 v47, v40, v42, s[48:49]                  // 000000008D70: D100002F 00C25528
	v_perm_b32 v192, v47, v46, s52                             // 000000008D78: D1ED00C0 00D25D2F
	v_cmp_u_f32_e64 s[48:49], v194, v194                       // 000000008D80: D0480030 000385C2
	v_add3_u32 v40, v194, v43, 1                               // 000000008D88: D1FF0028 020657C2
	v_cndmask_b32_e64 v46, v40, v42, s[48:49]                  // 000000008D90: D100002E 00C25528
	v_cmp_u_f32_e64 s[48:49], v195, v195                       // 000000008D98: D0480030 000387C3
	v_add3_u32 v40, v195, v43, 1                               // 000000008DA0: D1FF0028 020657C3
	v_cndmask_b32_e64 v47, v40, v42, s[48:49]                  // 000000008DA8: D100002F 00C25528
	v_perm_b32 v193, v47, v46, s52                             // 000000008DB0: D1ED00C1 00D25D2F
	v_cmp_u_f32_e64 s[48:49], v196, v196                       // 000000008DB8: D0480030 000389C4
	v_add3_u32 v40, v196, v43, 1                               // 000000008DC0: D1FF0028 020657C4
	v_cndmask_b32_e64 v46, v40, v42, s[48:49]                  // 000000008DC8: D100002E 00C25528
	v_cmp_u_f32_e64 s[48:49], v197, v197                       // 000000008DD0: D0480030 00038BC5
	v_add3_u32 v40, v197, v43, 1                               // 000000008DD8: D1FF0028 020657C5
	v_cndmask_b32_e64 v47, v40, v42, s[48:49]                  // 000000008DE0: D100002F 00C25528
	v_perm_b32 v194, v47, v46, s52                             // 000000008DE8: D1ED00C2 00D25D2F
	v_cmp_u_f32_e64 s[48:49], v198, v198                       // 000000008DF0: D0480030 00038DC6
	v_add3_u32 v40, v198, v43, 1                               // 000000008DF8: D1FF0028 020657C6
	v_cndmask_b32_e64 v46, v40, v42, s[48:49]                  // 000000008E00: D100002E 00C25528
	v_cmp_u_f32_e64 s[48:49], v199, v199                       // 000000008E08: D0480030 00038FC7
	v_add3_u32 v40, v199, v43, 1                               // 000000008E10: D1FF0028 020657C7
	v_cndmask_b32_e64 v47, v40, v42, s[48:49]                  // 000000008E18: D100002F 00C25528
	v_perm_b32 v195, v47, v46, s52                             // 000000008E20: D1ED00C3 00D25D2F
	v_cmp_u_f32_e64 s[48:49], v200, v200                       // 000000008E28: D0480030 000391C8
	v_add3_u32 v40, v200, v43, 1                               // 000000008E30: D1FF0028 020657C8
	v_cndmask_b32_e64 v46, v40, v42, s[48:49]                  // 000000008E38: D100002E 00C25528
	v_cmp_u_f32_e64 s[48:49], v201, v201                       // 000000008E40: D0480030 000393C9
	v_add3_u32 v40, v201, v43, 1                               // 000000008E48: D1FF0028 020657C9
	v_cndmask_b32_e64 v47, v40, v42, s[48:49]                  // 000000008E50: D100002F 00C25528
	v_perm_b32 v196, v47, v46, s52                             // 000000008E58: D1ED00C4 00D25D2F
	v_cmp_u_f32_e64 s[48:49], v202, v202                       // 000000008E60: D0480030 000395CA
	v_add3_u32 v40, v202, v43, 1                               // 000000008E68: D1FF0028 020657CA
	v_cndmask_b32_e64 v46, v40, v42, s[48:49]                  // 000000008E70: D100002E 00C25528
	v_cmp_u_f32_e64 s[48:49], v203, v203                       // 000000008E78: D0480030 000397CB
	v_add3_u32 v40, v203, v43, 1                               // 000000008E80: D1FF0028 020657CB
	v_cndmask_b32_e64 v47, v40, v42, s[48:49]                  // 000000008E88: D100002F 00C25528
	v_perm_b32 v197, v47, v46, s52                             // 000000008E90: D1ED00C5 00D25D2F
	v_cmp_u_f32_e64 s[48:49], v204, v204                       // 000000008E98: D0480030 000399CC
	v_add3_u32 v40, v204, v43, 1                               // 000000008EA0: D1FF0028 020657CC
	v_cndmask_b32_e64 v46, v40, v42, s[48:49]                  // 000000008EA8: D100002E 00C25528
	v_cmp_u_f32_e64 s[48:49], v205, v205                       // 000000008EB0: D0480030 00039BCD
	v_add3_u32 v40, v205, v43, 1                               // 000000008EB8: D1FF0028 020657CD
	v_cndmask_b32_e64 v47, v40, v42, s[48:49]                  // 000000008EC0: D100002F 00C25528
	v_perm_b32 v198, v47, v46, s52                             // 000000008EC8: D1ED00C6 00D25D2F
	v_cmp_u_f32_e64 s[48:49], v206, v206                       // 000000008ED0: D0480030 00039DCE
	v_add3_u32 v40, v206, v43, 1                               // 000000008ED8: D1FF0028 020657CE
	v_cndmask_b32_e64 v46, v40, v42, s[48:49]                  // 000000008EE0: D100002E 00C25528
	v_cmp_u_f32_e64 s[48:49], v207, v207                       // 000000008EE8: D0480030 00039FCF
	v_add3_u32 v40, v207, v43, 1                               // 000000008EF0: D1FF0028 020657CF
	v_cndmask_b32_e64 v47, v40, v42, s[48:49]                  // 000000008EF8: D100002F 00C25528
	v_perm_b32 v199, v47, v46, s52                             // 000000008F00: D1ED00C7 00D25D2F
	v_cmp_u_f32_e64 s[48:49], v208, v208                       // 000000008F08: D0480030 0003A1D0
	v_add3_u32 v40, v208, v43, 1                               // 000000008F10: D1FF0028 020657D0
	v_cndmask_b32_e64 v46, v40, v42, s[48:49]                  // 000000008F18: D100002E 00C25528
	v_cmp_u_f32_e64 s[48:49], v209, v209                       // 000000008F20: D0480030 0003A3D1
	v_add3_u32 v40, v209, v43, 1                               // 000000008F28: D1FF0028 020657D1
	v_cndmask_b32_e64 v47, v40, v42, s[48:49]                  // 000000008F30: D100002F 00C25528
	v_perm_b32 v200, v47, v46, s52                             // 000000008F38: D1ED00C8 00D25D2F
	v_cmp_u_f32_e64 s[48:49], v210, v210                       // 000000008F40: D0480030 0003A5D2
	v_add3_u32 v40, v210, v43, 1                               // 000000008F48: D1FF0028 020657D2
	v_cndmask_b32_e64 v46, v40, v42, s[48:49]                  // 000000008F50: D100002E 00C25528
	v_cmp_u_f32_e64 s[48:49], v211, v211                       // 000000008F58: D0480030 0003A7D3
	v_add3_u32 v40, v211, v43, 1                               // 000000008F60: D1FF0028 020657D3
	v_cndmask_b32_e64 v47, v40, v42, s[48:49]                  // 000000008F68: D100002F 00C25528
	v_perm_b32 v201, v47, v46, s52                             // 000000008F70: D1ED00C9 00D25D2F
	v_cmp_u_f32_e64 s[48:49], v212, v212                       // 000000008F78: D0480030 0003A9D4
	v_add3_u32 v40, v212, v43, 1                               // 000000008F80: D1FF0028 020657D4
	v_cndmask_b32_e64 v46, v40, v42, s[48:49]                  // 000000008F88: D100002E 00C25528
	v_cmp_u_f32_e64 s[48:49], v213, v213                       // 000000008F90: D0480030 0003ABD5
	v_add3_u32 v40, v213, v43, 1                               // 000000008F98: D1FF0028 020657D5
	v_cndmask_b32_e64 v47, v40, v42, s[48:49]                  // 000000008FA0: D100002F 00C25528
	v_perm_b32 v202, v47, v46, s52                             // 000000008FA8: D1ED00CA 00D25D2F
	v_cmp_u_f32_e64 s[48:49], v214, v214                       // 000000008FB0: D0480030 0003ADD6
	v_add3_u32 v40, v214, v43, 1                               // 000000008FB8: D1FF0028 020657D6
	v_cndmask_b32_e64 v46, v40, v42, s[48:49]                  // 000000008FC0: D100002E 00C25528
	v_cmp_u_f32_e64 s[48:49], v215, v215                       // 000000008FC8: D0480030 0003AFD7
	v_add3_u32 v40, v215, v43, 1                               // 000000008FD0: D1FF0028 020657D7
	v_cndmask_b32_e64 v47, v40, v42, s[48:49]                  // 000000008FD8: D100002F 00C25528
	v_perm_b32 v203, v47, v46, s52                             // 000000008FE0: D1ED00CB 00D25D2F
	v_cmp_u_f32_e64 s[48:49], v216, v216                       // 000000008FE8: D0480030 0003B1D8
	v_add3_u32 v40, v216, v43, 1                               // 000000008FF0: D1FF0028 020657D8
	v_cndmask_b32_e64 v46, v40, v42, s[48:49]                  // 000000008FF8: D100002E 00C25528
	v_cmp_u_f32_e64 s[48:49], v217, v217                       // 000000009000: D0480030 0003B3D9
	v_add3_u32 v40, v217, v43, 1                               // 000000009008: D1FF0028 020657D9
	v_cndmask_b32_e64 v47, v40, v42, s[48:49]                  // 000000009010: D100002F 00C25528
	v_perm_b32 v204, v47, v46, s52                             // 000000009018: D1ED00CC 00D25D2F
	v_cmp_u_f32_e64 s[48:49], v218, v218                       // 000000009020: D0480030 0003B5DA
	v_add3_u32 v40, v218, v43, 1                               // 000000009028: D1FF0028 020657DA
	v_cndmask_b32_e64 v46, v40, v42, s[48:49]                  // 000000009030: D100002E 00C25528
	v_cmp_u_f32_e64 s[48:49], v219, v219                       // 000000009038: D0480030 0003B7DB
	v_add3_u32 v40, v219, v43, 1                               // 000000009040: D1FF0028 020657DB
	v_cndmask_b32_e64 v47, v40, v42, s[48:49]                  // 000000009048: D100002F 00C25528
	v_perm_b32 v205, v47, v46, s52                             // 000000009050: D1ED00CD 00D25D2F
	v_cmp_u_f32_e64 s[48:49], v220, v220                       // 000000009058: D0480030 0003B9DC
	v_add3_u32 v40, v220, v43, 1                               // 000000009060: D1FF0028 020657DC
	v_cndmask_b32_e64 v46, v40, v42, s[48:49]                  // 000000009068: D100002E 00C25528
	v_cmp_u_f32_e64 s[48:49], v221, v221                       // 000000009070: D0480030 0003BBDD
	v_add3_u32 v40, v221, v43, 1                               // 000000009078: D1FF0028 020657DD
	v_cndmask_b32_e64 v47, v40, v42, s[48:49]                  // 000000009080: D100002F 00C25528
	v_perm_b32 v206, v47, v46, s52                             // 000000009088: D1ED00CE 00D25D2F
	v_cmp_u_f32_e64 s[48:49], v222, v222                       // 000000009090: D0480030 0003BDDE
	v_add3_u32 v40, v222, v43, 1                               // 000000009098: D1FF0028 020657DE
	v_cndmask_b32_e64 v46, v40, v42, s[48:49]                  // 0000000090A0: D100002E 00C25528
	v_cmp_u_f32_e64 s[48:49], v223, v223                       // 0000000090A8: D0480030 0003BFDF
	v_add3_u32 v40, v223, v43, 1                               // 0000000090B0: D1FF0028 020657DF
	v_cndmask_b32_e64 v47, v40, v42, s[48:49]                  // 0000000090B8: D100002F 00C25528
	v_perm_b32 v207, v47, v46, s52                             // 0000000090C0: D1ED00CF 00D25D2F
	ds_write_b64 v3, v[192:193] offset:26880                   // 0000000090C8: D89A6900 0000C003
	ds_write_b64 v3, v[194:195] offset:35584                   // 0000000090D0: D89A8B00 0000C203
	ds_write_b64 v3, v[196:197] offset:29056                   // 0000000090D8: D89A7180 0000C403
	ds_write_b64 v3, v[198:199] offset:37760                   // 0000000090E0: D89A9380 0000C603
	ds_write_b64 v3, v[200:201] offset:31232                   // 0000000090E8: D89A7A00 0000C803
	ds_write_b64 v3, v[202:203] offset:39936                   // 0000000090F0: D89A9C00 0000CA03
	ds_write_b64 v3, v[204:205] offset:33408                   // 0000000090F8: D89A8280 0000CC03
	ds_write_b64 v3, v[206:207] offset:42112                   // 000000009100: D89AA480 0000CE03
	s_waitcnt lgkmcnt(0)                                       // 000000009108: BF8CC07F
	s_barrier                                                  // 00000000910C: BF8A0000
	ds_read_b32 v64, v4 offset:26880                           // 000000009110: D86C6900 40000004
	ds_read_b32 v65, v4 offset:31232                           // 000000009118: D86C7A00 41000004
	ds_read_b32 v66, v4 offset:26912                           // 000000009120: D86C6920 42000004
	ds_read_b32 v67, v4 offset:31264                           // 000000009128: D86C7A20 43000004
	ds_read_b32 v68, v4 offset:26944                           // 000000009130: D86C6940 44000004
	ds_read_b32 v69, v4 offset:31296                           // 000000009138: D86C7A40 45000004
	ds_read_b32 v70, v4 offset:26976                           // 000000009140: D86C6960 46000004
	ds_read_b32 v71, v4 offset:31328                           // 000000009148: D86C7A60 47000004
	ds_read_b32 v72, v4 offset:35584                           // 000000009150: D86C8B00 48000004
	ds_read_b32 v73, v4 offset:39936                           // 000000009158: D86C9C00 49000004
	ds_read_b32 v74, v4 offset:35616                           // 000000009160: D86C8B20 4A000004
	ds_read_b32 v75, v4 offset:39968                           // 000000009168: D86C9C20 4B000004
	ds_read_b32 v76, v4 offset:35648                           // 000000009170: D86C8B40 4C000004
	ds_read_b32 v77, v4 offset:40000                           // 000000009178: D86C9C40 4D000004
	ds_read_b32 v78, v4 offset:35680                           // 000000009180: D86C8B60 4E000004
	ds_read_b32 v79, v4 offset:40032                           // 000000009188: D86C9C60 4F000004
	s_waitcnt lgkmcnt(0)                                       // 000000009190: BF8CC07F
	s_mov_b64 exec, s[20:21]                                   // 000000009194: BEFE0114
	global_atomic_pk_add_bf16 v80, v64, s[8:9]                 // 000000009198: DD488000 00084050
	s_mov_b64 exec, s[36:37]                                   // 0000000091A0: BEFE0124
	s_mov_b64 exec, s[20:21]                                   // 0000000091A4: BEFE0114
	global_atomic_pk_add_bf16 v80, v65, s[8:9] offset:256      // 0000000091A8: DD488100 00084150
	s_mov_b64 exec, s[36:37]                                   // 0000000091B0: BEFE0124
	s_mov_b64 exec, s[22:23]                                   // 0000000091B4: BEFE0116
	global_atomic_pk_add_bf16 v82, v66, s[8:9]                 // 0000000091B8: DD488000 00084252
	s_mov_b64 exec, s[36:37]                                   // 0000000091C0: BEFE0124
	s_mov_b64 exec, s[22:23]                                   // 0000000091C4: BEFE0116
	global_atomic_pk_add_bf16 v82, v67, s[8:9] offset:256      // 0000000091C8: DD488100 00084352
	s_mov_b64 exec, s[36:37]                                   // 0000000091D0: BEFE0124
	s_mov_b64 exec, s[24:25]                                   // 0000000091D4: BEFE0118
	global_atomic_pk_add_bf16 v84, v68, s[8:9]                 // 0000000091D8: DD488000 00084454
	s_mov_b64 exec, s[36:37]                                   // 0000000091E0: BEFE0124
	s_mov_b64 exec, s[24:25]                                   // 0000000091E4: BEFE0118
	global_atomic_pk_add_bf16 v84, v69, s[8:9] offset:256      // 0000000091E8: DD488100 00084554
	s_mov_b64 exec, s[36:37]                                   // 0000000091F0: BEFE0124
	s_mov_b64 exec, s[26:27]                                   // 0000000091F4: BEFE011A
	global_atomic_pk_add_bf16 v86, v70, s[8:9]                 // 0000000091F8: DD488000 00084656
	s_mov_b64 exec, s[36:37]                                   // 000000009200: BEFE0124
	s_mov_b64 exec, s[26:27]                                   // 000000009204: BEFE011A
	global_atomic_pk_add_bf16 v86, v71, s[8:9] offset:256      // 000000009208: DD488100 00084756
	s_mov_b64 exec, s[36:37]                                   // 000000009210: BEFE0124
	s_mov_b64 exec, s[28:29]                                   // 000000009214: BEFE011C
	global_atomic_pk_add_bf16 v88, v72, s[8:9]                 // 000000009218: DD488000 00084858
	s_mov_b64 exec, s[36:37]                                   // 000000009220: BEFE0124
	s_mov_b64 exec, s[28:29]                                   // 000000009224: BEFE011C
	global_atomic_pk_add_bf16 v88, v73, s[8:9] offset:256      // 000000009228: DD488100 00084958
	s_mov_b64 exec, s[36:37]                                   // 000000009230: BEFE0124
	s_mov_b64 exec, s[30:31]                                   // 000000009234: BEFE011E
	global_atomic_pk_add_bf16 v90, v74, s[8:9]                 // 000000009238: DD488000 00084A5A
	s_mov_b64 exec, s[36:37]                                   // 000000009240: BEFE0124
	s_mov_b64 exec, s[30:31]                                   // 000000009244: BEFE011E
	global_atomic_pk_add_bf16 v90, v75, s[8:9] offset:256      // 000000009248: DD488100 00084B5A
	s_mov_b64 exec, s[36:37]                                   // 000000009250: BEFE0124
	s_mov_b64 exec, s[32:33]                                   // 000000009254: BEFE0120
	global_atomic_pk_add_bf16 v92, v76, s[8:9]                 // 000000009258: DD488000 00084C5C
	s_mov_b64 exec, s[36:37]                                   // 000000009260: BEFE0124
	s_mov_b64 exec, s[32:33]                                   // 000000009264: BEFE0120
	global_atomic_pk_add_bf16 v92, v77, s[8:9] offset:256      // 000000009268: DD488100 00084D5C
	s_mov_b64 exec, s[36:37]                                   // 000000009270: BEFE0124
	s_mov_b64 exec, s[34:35]                                   // 000000009274: BEFE0122
	global_atomic_pk_add_bf16 v94, v78, s[8:9]                 // 000000009278: DD488000 00084E5E
	s_mov_b64 exec, s[36:37]                                   // 000000009280: BEFE0124
	s_mov_b64 exec, s[34:35]                                   // 000000009284: BEFE0122
	global_atomic_pk_add_bf16 v94, v79, s[8:9] offset:256      // 000000009288: DD488100 00084F5E
	s_mov_b64 exec, s[36:37]                                   // 000000009290: BEFE0124
	s_add_u32 s8, s59, s8                                      // 000000009294: 8008083B
	s_addc_u32 s9, 0, s9                                       // 000000009298: 82090980
	s_addk_i32 s80, 0x100                                      // 00000000929C: B7500100
	s_cmp_lt_i32 s80, s81                                      // 0000000092A0: BF045150
	s_cbranch_scc0 label_0E16                                  // 0000000092A4: BF84F42C
	s_branch label_14CC                                        // 0000000092A8: BF82FAE1

00000000000092ac <label_19EB>:
	s_waitcnt vmcnt(0) expcnt(0) lgkmcnt(0)                    // 0000000092AC: BF8C0000
	s_endpgm                                                   // 0000000092B0: BF810000
